;; amdgpu-corpus repo=ROCm/rocFFT kind=compiled arch=gfx906 opt=O3
	.text
	.amdgcn_target "amdgcn-amd-amdhsa--gfx906"
	.amdhsa_code_object_version 6
	.protected	bluestein_single_back_len1020_dim1_sp_op_CI_CI ; -- Begin function bluestein_single_back_len1020_dim1_sp_op_CI_CI
	.globl	bluestein_single_back_len1020_dim1_sp_op_CI_CI
	.p2align	8
	.type	bluestein_single_back_len1020_dim1_sp_op_CI_CI,@function
bluestein_single_back_len1020_dim1_sp_op_CI_CI: ; @bluestein_single_back_len1020_dim1_sp_op_CI_CI
; %bb.0:
	v_mul_u32_u24_e32 v1, 0x3c4, v0
	s_mov_b64 s[30:31], s[2:3]
	s_load_dwordx4 s[12:15], s[4:5], 0x28
	v_lshrrev_b32_e32 v1, 16, v1
	s_mov_b64 s[28:29], s[0:1]
	v_mad_u64_u32 v[128:129], s[0:1], s6, 3, v[1:2]
	v_mov_b32_e32 v129, 0
	s_add_u32 s28, s28, s7
	s_waitcnt lgkmcnt(0)
	v_cmp_gt_u64_e32 vcc, s[12:13], v[128:129]
	s_addc_u32 s29, s29, 0
	s_and_saveexec_b64 s[0:1], vcc
	s_cbranch_execz .LBB0_31
; %bb.1:
	s_load_dwordx4 s[0:3], s[4:5], 0x18
	s_load_dwordx2 s[16:17], s[4:5], 0x0
	v_mul_lo_u16_e32 v1, 0x44, v1
	v_sub_u16_e32 v162, v0, v1
	v_lshlrev_b32_e32 v32, 3, v162
	s_waitcnt lgkmcnt(0)
	s_load_dwordx4 s[8:11], s[0:1], 0x0
	v_add_co_u32_e64 v116, s[6:7], s16, v32
	global_load_dwordx2 v[124:125], v32, s[16:17] offset:4080
	global_load_dwordx2 v[131:132], v32, s[16:17]
	global_load_dwordx2 v[122:123], v32, s[16:17] offset:544
	s_waitcnt lgkmcnt(0)
	v_mad_u64_u32 v[0:1], s[0:1], s10, v128, 0
	v_mad_u64_u32 v[2:3], s[0:1], s8, v162, 0
	;; [unrolled: 1-line block ×4, first 2 shown]
	v_mov_b32_e32 v1, v4
	v_lshlrev_b64 v[0:1], 3, v[0:1]
	v_mov_b32_e32 v6, s15
	v_mov_b32_e32 v3, v5
	v_add_co_u32_e32 v4, vcc, s14, v0
	v_addc_co_u32_e32 v5, vcc, v6, v1, vcc
	v_lshlrev_b64 v[0:1], 3, v[2:3]
	s_mul_i32 s0, s9, 0x1fe
	s_mul_hi_u32 s1, s8, 0x1fe
	s_add_i32 s1, s1, s0
	s_mul_i32 s0, s8, 0x1fe
	v_add_co_u32_e32 v0, vcc, v4, v0
	v_mov_b32_e32 v2, s17
	s_lshl_b64 s[14:15], s[0:1], 3
	s_mul_hi_u32 s1, s8, 0xfffffe46
	v_addc_co_u32_e32 v1, vcc, v5, v1, vcc
	v_addc_co_u32_e64 v117, vcc, 0, v2, s[6:7]
	s_mul_i32 s0, s9, 0xfffffe46
	s_sub_i32 s1, s1, s8
	v_mov_b32_e32 v30, s15
	v_add_co_u32_e32 v2, vcc, s14, v0
	s_add_i32 s1, s1, s0
	s_mul_i32 s0, s8, 0xfffffe46
	v_addc_co_u32_e32 v3, vcc, v1, v30, vcc
	s_lshl_b64 s[18:19], s[0:1], 3
	v_mov_b32_e32 v28, s19
	v_add_co_u32_e32 v4, vcc, s18, v2
	v_addc_co_u32_e32 v5, vcc, v3, v28, vcc
	v_add_co_u32_e32 v6, vcc, s14, v4
	v_addc_co_u32_e32 v7, vcc, v5, v30, vcc
	s_movk_i32 s0, 0x1000
	global_load_dwordx2 v[8:9], v[0:1], off
	global_load_dwordx2 v[10:11], v[2:3], off
	;; [unrolled: 1-line block ×4, first 2 shown]
	v_add_co_u32_e32 v2, vcc, s0, v116
	v_addc_co_u32_e32 v3, vcc, 0, v117, vcc
	v_add_co_u32_e32 v0, vcc, s18, v6
	v_addc_co_u32_e32 v1, vcc, v7, v28, vcc
	global_load_dwordx2 v[4:5], v[0:1], off
	v_add_co_u32_e32 v0, vcc, s14, v0
	v_addc_co_u32_e32 v1, vcc, v1, v30, vcc
	global_load_dwordx2 v[6:7], v[0:1], off
	global_load_dwordx2 v[126:127], v[2:3], off offset:528
	global_load_dwordx2 v[37:38], v[2:3], off offset:1072
	v_add_co_u32_e32 v0, vcc, s18, v0
	v_addc_co_u32_e32 v1, vcc, v1, v28, vcc
	global_load_dwordx2 v[129:130], v32, s[16:17] offset:1088
	global_load_dwordx2 v[16:17], v[0:1], off
	global_load_dwordx2 v[35:36], v32, s[16:17] offset:1632
	v_add_co_u32_e32 v0, vcc, s14, v0
	v_addc_co_u32_e32 v1, vcc, v1, v30, vcc
	global_load_dwordx2 v[18:19], v[0:1], off
	global_load_dwordx2 v[33:34], v[2:3], off offset:1616
	v_add_co_u32_e32 v0, vcc, s18, v0
	v_addc_co_u32_e32 v1, vcc, v1, v28, vcc
	global_load_dwordx2 v[20:21], v[0:1], off
	global_load_dwordx2 v[120:121], v32, s[16:17] offset:2176
	v_add_co_u32_e32 v0, vcc, s14, v0
	v_addc_co_u32_e32 v1, vcc, v1, v30, vcc
	global_load_dwordx2 v[22:23], v[0:1], off
	global_load_dwordx2 v[118:119], v[2:3], off offset:2160
	v_add_co_u32_e32 v0, vcc, s18, v0
	v_addc_co_u32_e32 v1, vcc, v1, v28, vcc
	;; [unrolled: 8-line block ×3, first 2 shown]
	global_load_dwordx2 v[28:29], v[0:1], off
	global_load_dwordx2 v[108:109], v32, s[16:17] offset:3264
	v_add_co_u32_e32 v0, vcc, s14, v0
	v_addc_co_u32_e32 v1, vcc, v1, v30, vcc
	s_mov_b32 s0, 0xaaaaaaab
	global_load_dwordx2 v[30:31], v[0:1], off
	global_load_dwordx2 v[110:111], v[2:3], off offset:3248
	v_mul_hi_u32 v2, v128, s0
	s_load_dwordx2 s[12:13], s[4:5], 0x38
	s_load_dwordx4 s[8:11], s[2:3], 0x0
	v_cmp_gt_u16_e64 s[0:1], 34, v162
	v_lshrrev_b32_e32 v2, 1, v2
	v_lshl_add_u32 v2, v2, 1, v2
	v_sub_u32_e32 v2, v128, v2
	v_mul_u32_u24_e32 v3, 0x3fc, v2
	v_lshlrev_b32_e32 v163, 3, v3
	v_add_u32_e32 v161, v32, v163
	s_waitcnt vmcnt(24)
	v_mul_f32_e32 v2, v9, v132
	v_mul_f32_e32 v3, v8, v132
	v_fmac_f32_e32 v2, v8, v131
	v_fma_f32 v3, v9, v131, -v3
	s_waitcnt vmcnt(23)
	v_mul_f32_e32 v8, v11, v125
	v_mul_f32_e32 v9, v10, v125
	v_fmac_f32_e32 v8, v10, v124
	v_fma_f32 v9, v11, v124, -v9
	ds_write_b64 v161, v[8:9] offset:4080
	s_waitcnt vmcnt(22)
	v_mul_f32_e32 v8, v13, v123
	v_mul_f32_e32 v9, v12, v123
	v_fmac_f32_e32 v8, v12, v122
	v_fma_f32 v9, v13, v122, -v9
	ds_write2_b64 v161, v[2:3], v[8:9] offset1:68
	v_add_u32_e32 v12, 0x1800, v161
	s_waitcnt vmcnt(18)
	v_mul_f32_e32 v2, v15, v127
	v_mul_f32_e32 v3, v14, v127
	v_fmac_f32_e32 v2, v14, v126
	v_fma_f32 v3, v15, v126, -v3
	s_waitcnt vmcnt(16)
	v_mul_f32_e32 v8, v5, v130
	v_fmac_f32_e32 v8, v4, v129
	v_mul_f32_e32 v4, v4, v130
	v_fma_f32 v9, v5, v129, -v4
	v_mul_f32_e32 v5, v7, v38
	v_fmac_f32_e32 v5, v6, v37
	v_mul_f32_e32 v4, v6, v38
	buffer_store_dword v37, off, s[28:31], 0 offset:16 ; 4-byte Folded Spill
	s_nop 0
	buffer_store_dword v38, off, s[28:31], 0 offset:20 ; 4-byte Folded Spill
	v_fma_f32 v6, v7, v37, -v4
	v_add_u32_e32 v4, 0x1000, v161
	ds_write2_b64 v4, v[2:3], v[5:6] offset0:66 offset1:134
	s_waitcnt vmcnt(16)
	v_mul_f32_e32 v2, v17, v36
	v_fmac_f32_e32 v2, v16, v35
	v_mul_f32_e32 v3, v16, v36
	buffer_store_dword v35, off, s[28:31], 0 offset:8 ; 4-byte Folded Spill
	s_nop 0
	buffer_store_dword v36, off, s[28:31], 0 offset:12 ; 4-byte Folded Spill
	s_waitcnt vmcnt(14)
	v_mul_f32_e32 v5, v20, v121
	v_mul_f32_e32 v7, v21, v121
	v_fmac_f32_e32 v7, v20, v120
	v_add_u32_e32 v6, 0x800, v161
	v_fma_f32 v3, v17, v35, -v3
	ds_write2_b64 v161, v[8:9], v[2:3] offset0:136 offset1:204
	v_mul_f32_e32 v2, v19, v34
	v_fmac_f32_e32 v2, v18, v33
	v_mul_f32_e32 v3, v18, v34
	buffer_store_dword v33, off, s[28:31], 0 ; 4-byte Folded Spill
	s_nop 0
	buffer_store_dword v34, off, s[28:31], 0 offset:4 ; 4-byte Folded Spill
	v_fma_f32 v8, v21, v120, -v5
	s_waitcnt vmcnt(14)
	v_mul_f32_e32 v9, v23, v119
	v_mul_f32_e32 v5, v22, v119
	v_fmac_f32_e32 v9, v22, v118
	v_fma_f32 v10, v23, v118, -v5
	v_add_u32_e32 v5, 0x1400, v161
	v_fma_f32 v3, v19, v33, -v3
	ds_write2_b64 v5, v[2:3], v[9:10] offset0:74 offset1:142
	s_waitcnt vmcnt(12)
	v_mul_f32_e32 v2, v25, v115
	v_mul_f32_e32 v3, v24, v115
	v_fmac_f32_e32 v2, v24, v114
	v_fma_f32 v3, v25, v114, -v3
	ds_write2_b64 v6, v[7:8], v[2:3] offset0:16 offset1:84
	s_waitcnt vmcnt(8)
	v_mul_f32_e32 v7, v29, v109
	v_mul_f32_e32 v8, v28, v109
	v_fmac_f32_e32 v7, v28, v108
	v_fma_f32 v8, v29, v108, -v8
	v_mul_f32_e32 v2, v27, v113
	v_mul_f32_e32 v3, v26, v113
	ds_write_b64 v161, v[7:8] offset:3264
	s_waitcnt vmcnt(6)
	v_mul_f32_e32 v7, v31, v111
	v_mul_f32_e32 v8, v30, v111
	v_fmac_f32_e32 v2, v26, v112
	v_fma_f32 v3, v27, v112, -v3
	v_fmac_f32_e32 v7, v30, v110
	v_fma_f32 v8, v31, v110, -v8
	ds_write2_b64 v12, v[2:3], v[7:8] offset0:82 offset1:150
	s_and_saveexec_b64 s[2:3], s[0:1]
	s_cbranch_execz .LBB0_3
; %bb.2:
	v_mov_b32_e32 v2, s19
	v_add_co_u32_e32 v0, vcc, s18, v0
	v_addc_co_u32_e32 v1, vcc, v1, v2, vcc
	global_load_dwordx2 v[2:3], v[0:1], off
	global_load_dwordx2 v[7:8], v[116:117], off offset:3808
	v_mov_b32_e32 v9, s15
	v_add_co_u32_e32 v0, vcc, s14, v0
	v_addc_co_u32_e32 v1, vcc, v1, v9, vcc
	v_add_co_u32_e32 v9, vcc, 0x1000, v116
	v_addc_co_u32_e32 v10, vcc, 0, v117, vcc
	global_load_dwordx2 v[13:14], v[9:10], off offset:3792
	global_load_dwordx2 v[15:16], v[0:1], off
	s_waitcnt vmcnt(2)
	v_mul_f32_e32 v0, v3, v8
	v_mul_f32_e32 v1, v2, v8
	v_fmac_f32_e32 v0, v2, v7
	v_fma_f32 v1, v3, v7, -v1
	ds_write_b64 v161, v[0:1] offset:3808
	s_waitcnt vmcnt(0)
	v_mul_f32_e32 v2, v16, v14
	v_mul_f32_e32 v3, v15, v14
	v_fmac_f32_e32 v2, v15, v13
	v_fma_f32 v3, v16, v13, -v3
	ds_write_b64 v161, v[2:3] offset:7888
.LBB0_3:
	s_or_b64 exec, exec, s[2:3]
	s_waitcnt vmcnt(0) lgkmcnt(0)
	s_barrier
	ds_read2_b64 v[8:11], v161 offset1:68
	ds_read2_b64 v[0:3], v6 offset0:152 offset1:254
	ds_read2_b64 v[24:27], v4 offset0:66 offset1:134
	;; [unrolled: 1-line block ×6, first 2 shown]
                                        ; implicit-def: $vgpr30
                                        ; implicit-def: $vgpr28
	s_and_saveexec_b64 s[2:3], s[0:1]
	s_cbranch_execz .LBB0_5
; %bb.4:
	ds_read_b64 v[28:29], v161 offset:3808
	ds_read_b64 v[30:31], v161 offset:7888
.LBB0_5:
	s_or_b64 exec, exec, s[2:3]
	s_movk_i32 s2, 0xcc
	v_add_co_u32_e32 v67, vcc, s2, v162
	s_movk_i32 s2, 0x110
	s_load_dwordx2 s[4:5], s[4:5], 0x8
	v_add_co_u32_e32 v69, vcc, s2, v162
	s_movk_i32 s2, 0x154
	v_add_co_u32_e32 v72, vcc, s2, v162
	s_movk_i32 s2, 0x198
	;; [unrolled: 2-line block ×3, first 2 shown]
	v_add_co_u32_e32 v66, vcc, 0x44, v162
	v_add_co_u32_e32 v68, vcc, 0x88, v162
	;; [unrolled: 1-line block ×3, first 2 shown]
	s_waitcnt lgkmcnt(0)
	v_sub_f32_e32 v34, v8, v2
	v_sub_f32_e32 v35, v9, v3
	;; [unrolled: 1-line block ×16, first 2 shown]
	v_fma_f32 v32, v8, 2.0, -v34
	v_fma_f32 v33, v9, 2.0, -v35
	v_fma_f32 v36, v10, 2.0, -v38
	v_fma_f32 v37, v11, 2.0, -v39
	v_fma_f32 v40, v16, 2.0, -v42
	v_fma_f32 v41, v17, 2.0, -v43
	v_fma_f32 v44, v18, 2.0, -v46
	v_fma_f32 v45, v19, 2.0, -v47
	v_fma_f32 v48, v4, 2.0, -v50
	v_fma_f32 v49, v5, 2.0, -v51
	v_fma_f32 v52, v6, 2.0, -v54
	v_fma_f32 v53, v7, 2.0, -v55
	v_fma_f32 v56, v0, 2.0, -v58
	v_fma_f32 v57, v1, 2.0, -v59
	v_fma_f32 v60, v28, 2.0, -v62
	v_fma_f32 v61, v29, 2.0, -v63
	v_lshl_add_u32 v134, v162, 4, v163
	v_lshl_add_u32 v135, v66, 4, v163
	;; [unrolled: 1-line block ×8, first 2 shown]
	s_barrier
	ds_write_b128 v134, v[32:35]
	ds_write_b128 v135, v[36:39]
	;; [unrolled: 1-line block ×7, first 2 shown]
	s_and_saveexec_b64 s[2:3], s[0:1]
	s_cbranch_execz .LBB0_7
; %bb.6:
	ds_write_b128 v136, v[60:63]
.LBB0_7:
	s_or_b64 exec, exec, s[2:3]
	v_cmp_gt_u16_e64 s[2:3], 60, v162
	s_waitcnt lgkmcnt(0)
	s_barrier
	s_waitcnt lgkmcnt(0)
                                        ; implicit-def: $vgpr64
	s_and_saveexec_b64 s[14:15], s[2:3]
	s_cbranch_execz .LBB0_9
; %bb.8:
	v_add_u32_e32 v0, 0x400, v161
	ds_read2_b64 v[32:35], v161 offset1:60
	ds_read2_b64 v[36:39], v161 offset0:120 offset1:180
	ds_read2_b64 v[40:43], v0 offset0:112 offset1:172
	v_add_u32_e32 v0, 0x800, v161
	ds_read2_b64 v[44:47], v0 offset0:104 offset1:164
	v_add_u32_e32 v0, 0xc00, v161
	;; [unrolled: 2-line block ×5, first 2 shown]
	ds_read2_b64 v[60:63], v0 offset0:72 offset1:132
	ds_read_b64 v[64:65], v161 offset:7680
.LBB0_9:
	s_or_b64 exec, exec, s[14:15]
	v_and_b32_e32 v0, 1, v162
	v_lshlrev_b32_e32 v73, 7, v0
	global_load_dwordx4 v[24:27], v73, s[4:5]
	global_load_dwordx4 v[16:19], v73, s[4:5] offset:16
	global_load_dwordx4 v[8:11], v73, s[4:5] offset:32
	;; [unrolled: 1-line block ×7, first 2 shown]
	s_mov_b32 s16, 0x3f6eb680
	s_mov_b32 s18, 0x3f3d2fb0
	;; [unrolled: 1-line block ×8, first 2 shown]
	s_waitcnt vmcnt(0) lgkmcnt(0)
	s_barrier
	v_mul_f32_e32 v73, v34, v25
	v_mul_f32_e32 v74, v36, v27
	v_fmac_f32_e32 v73, v35, v24
	v_mul_f32_e32 v88, v35, v25
	v_fmac_f32_e32 v74, v37, v26
	v_mul_f32_e32 v83, v54, v21
	v_mul_f32_e32 v90, v37, v27
	;; [unrolled: 1-line block ×4, first 2 shown]
	v_fmac_f32_e32 v89, v65, v6
	v_mul_f32_e32 v104, v65, v7
	v_fmac_f32_e32 v87, v63, v4
	v_sub_f32_e32 v106, v73, v89
	v_mul_f32_e32 v91, v39, v17
	v_mul_f32_e32 v79, v46, v1
	;; [unrolled: 1-line block ×6, first 2 shown]
	v_fma_f32 v88, v34, v24, -v88
	v_fmac_f32_e32 v83, v55, v20
	v_fma_f32 v55, v64, v6, -v104
	v_mul_f32_e32 v237, 0xbeb8f4ab, v106
	v_sub_f32_e32 v140, v74, v87
	v_mul_f32_e32 v75, v38, v17
	v_mul_f32_e32 v92, v41, v19
	;; [unrolled: 1-line block ×7, first 2 shown]
	v_fma_f32 v90, v36, v26, -v90
	v_fma_f32 v91, v38, v16, -v91
	v_fmac_f32_e32 v79, v47, v0
	v_fma_f32 v47, v48, v2, -v96
	v_fma_f32 v48, v50, v28, -v97
	;; [unrolled: 1-line block ×4, first 2 shown]
	v_add_f32_e32 v38, v88, v55
	v_sub_f32_e32 v142, v88, v55
	v_mov_b32_e32 v34, v237
	v_mul_f32_e32 v97, 0xbf2c7751, v140
	v_mul_f32_e32 v76, v40, v19
	v_fmac_f32_e32 v75, v39, v16
	v_fma_f32 v92, v40, v18, -v92
	v_fmac_f32_e32 v80, v49, v2
	v_fma_f32 v49, v52, v30, -v98
	v_fmac_f32_e32 v86, v61, v14
	v_add_f32_e32 v40, v73, v89
	v_add_f32_e32 v39, v90, v54
	v_mul_f32_e32 v98, 0xbeb8f4ab, v142
	v_fmac_f32_e32 v34, 0x3f6eb680, v38
	v_sub_f32_e32 v145, v90, v54
	v_mov_b32_e32 v36, v97
	v_mul_f32_e32 v82, v52, v31
	v_mul_f32_e32 v101, v59, v13
	;; [unrolled: 1-line block ×3, first 2 shown]
	v_fmac_f32_e32 v76, v41, v18
	v_fma_f32 v35, v40, s16, -v98
	v_add_f32_e32 v34, v32, v34
	v_add_f32_e32 v41, v74, v87
	v_mul_f32_e32 v99, 0xbf2c7751, v145
	v_fmac_f32_e32 v36, 0x3f3d2fb0, v39
	v_sub_f32_e32 v144, v75, v86
	v_mul_f32_e32 v93, v43, v9
	v_mul_f32_e32 v85, v58, v13
	v_fmac_f32_e32 v82, v53, v30
	v_fma_f32 v52, v58, v12, -v101
	v_fma_f32 v53, v60, v14, -v102
	v_add_f32_e32 v35, v33, v35
	v_add_f32_e32 v34, v36, v34
	v_fma_f32 v36, v41, s18, -v99
	v_mul_f32_e32 v101, 0xbf65296c, v144
	v_mul_f32_e32 v77, v42, v9
	v_fma_f32 v93, v42, v8, -v93
	v_fmac_f32_e32 v85, v59, v12
	v_add_f32_e32 v35, v36, v35
	v_add_f32_e32 v42, v91, v53
	v_sub_f32_e32 v149, v91, v53
	v_mov_b32_e32 v36, v101
	v_fmac_f32_e32 v77, v43, v8
	v_add_f32_e32 v43, v75, v86
	v_mul_f32_e32 v102, 0xbf65296c, v149
	v_fmac_f32_e32 v36, 0x3ee437d1, v42
	v_sub_f32_e32 v148, v76, v85
	v_mul_f32_e32 v94, v45, v11
	v_mul_f32_e32 v84, v56, v23
	v_add_f32_e32 v34, v36, v34
	v_fma_f32 v36, v43, s19, -v102
	v_mul_f32_e32 v103, 0xbf7ee86f, v148
	v_mul_f32_e32 v78, v44, v11
	v_fma_f32 v94, v44, v10, -v94
	v_fmac_f32_e32 v84, v57, v22
	v_add_f32_e32 v35, v36, v35
	v_add_f32_e32 v44, v92, v52
	v_sub_f32_e32 v152, v92, v52
	v_mov_b32_e32 v36, v103
	v_mul_f32_e32 v100, v57, v23
	v_fmac_f32_e32 v78, v45, v10
	v_add_f32_e32 v45, v76, v85
	v_mul_f32_e32 v104, 0xbf7ee86f, v152
	v_fmac_f32_e32 v36, 0x3dbcf732, v44
	v_sub_f32_e32 v151, v77, v84
	v_fmac_f32_e32 v81, v51, v28
	v_fma_f32 v51, v56, v22, -v100
	v_add_f32_e32 v34, v36, v34
	v_fma_f32 v36, v45, s21, -v104
	v_mul_f32_e32 v105, 0xbf763a35, v151
	v_fma_f32 v95, v46, v0, -v95
	v_add_f32_e32 v35, v36, v35
	v_add_f32_e32 v46, v93, v51
	v_sub_f32_e32 v157, v93, v51
	v_mov_b32_e32 v36, v105
	v_add_f32_e32 v56, v77, v84
	v_mul_f32_e32 v107, 0xbf763a35, v157
	v_fmac_f32_e32 v36, 0xbe8c1d8e, v46
	v_sub_f32_e32 v153, v78, v83
	v_add_f32_e32 v34, v36, v34
	v_fma_f32 v36, v56, s23, -v107
	v_mul_f32_e32 v139, 0xbf4c4adb, v153
	v_add_f32_e32 v35, v36, v35
	v_add_f32_e32 v57, v94, v50
	v_sub_f32_e32 v175, v94, v50
	v_mov_b32_e32 v36, v139
	v_add_f32_e32 v59, v78, v83
	v_mul_f32_e32 v141, 0xbf4c4adb, v175
	v_fmac_f32_e32 v36, 0xbf1a4643, v57
	v_sub_f32_e32 v173, v79, v82
	v_add_f32_e32 v34, v36, v34
	v_fma_f32 v36, v59, s20, -v141
	v_mul_f32_e32 v143, 0xbf06c442, v173
	;; [unrolled: 11-line block ×3, first 2 shown]
	v_add_f32_e32 v35, v36, v35
	v_add_f32_e32 v64, v47, v48
	v_mov_b32_e32 v36, v147
	v_sub_f32_e32 v189, v47, v48
	v_fmac_f32_e32 v36, 0xbf7ba420, v64
	v_add_f32_e32 v100, v80, v81
	v_mul_f32_e32 v150, 0xbe3c28d5, v189
	v_add_f32_e32 v155, v36, v34
	v_fma_f32 v34, v100, s22, -v150
	v_mul_f32_e32 v154, 0xbf2c7751, v106
	v_add_f32_e32 v156, v34, v35
	v_mov_b32_e32 v34, v154
	v_mul_f32_e32 v158, 0xbf7ee86f, v140
	v_fmac_f32_e32 v34, 0x3f3d2fb0, v38
	v_mov_b32_e32 v35, v158
	v_add_f32_e32 v34, v32, v34
	v_fmac_f32_e32 v35, 0x3dbcf732, v39
	v_mul_f32_e32 v176, 0xbf2c7751, v142
	v_add_f32_e32 v34, v35, v34
	v_fma_f32 v35, v40, s18, -v176
	v_mul_f32_e32 v177, 0xbf7ee86f, v145
	v_add_f32_e32 v35, v33, v35
	v_fma_f32 v36, v41, s21, -v177
	v_mul_f32_e32 v159, 0xbf4c4adb, v144
	v_add_f32_e32 v35, v36, v35
	v_mov_b32_e32 v36, v159
	v_fmac_f32_e32 v36, 0xbf1a4643, v42
	v_mul_f32_e32 v179, 0xbf4c4adb, v149
	v_add_f32_e32 v34, v36, v34
	v_fma_f32 v36, v43, s20, -v179
	v_mul_f32_e32 v160, 0xbe3c28d5, v148
	v_add_f32_e32 v35, v36, v35
	v_mov_b32_e32 v36, v160
	v_fmac_f32_e32 v36, 0xbf7ba420, v44
	;; [unrolled: 7-line block ×6, first 2 shown]
	v_mul_f32_e32 v188, 0x3eb8f4ab, v189
	v_add_f32_e32 v62, v36, v34
	v_fma_f32 v34, v100, s16, -v188
	v_mul_f32_e32 v190, 0xbf65296c, v106
	v_add_f32_e32 v63, v34, v35
	v_mov_b32_e32 v34, v190
	v_mul_f32_e32 v191, 0xbf4c4adb, v140
	v_fmac_f32_e32 v34, 0x3ee437d1, v38
	v_mov_b32_e32 v35, v191
	v_add_f32_e32 v34, v32, v34
	v_fmac_f32_e32 v35, 0xbf1a4643, v39
	v_mul_f32_e32 v195, 0xbf65296c, v142
	v_add_f32_e32 v34, v35, v34
	v_fma_f32 v35, v40, s19, -v195
	v_mul_f32_e32 v196, 0xbf4c4adb, v145
	v_add_f32_e32 v35, v33, v35
	v_fma_f32 v36, v41, s20, -v196
	v_mul_f32_e32 v192, 0x3e3c28d5, v144
	v_add_f32_e32 v35, v36, v35
	v_mov_b32_e32 v36, v192
	v_fmac_f32_e32 v36, 0xbf7ba420, v42
	v_mul_f32_e32 v198, 0x3e3c28d5, v149
	v_add_f32_e32 v34, v36, v34
	v_fma_f32 v36, v43, s22, -v198
	v_mul_f32_e32 v193, 0x3f763a35, v148
	v_add_f32_e32 v35, v36, v35
	v_mov_b32_e32 v36, v193
	v_fmac_f32_e32 v36, 0xbe8c1d8e, v44
	;; [unrolled: 7-line block ×6, first 2 shown]
	v_mul_f32_e32 v205, 0xbf06c442, v189
	v_add_f32_e32 v60, v36, v34
	v_fma_f32 v34, v100, s24, -v205
	v_add_f32_e32 v61, v34, v35
	s_and_saveexec_b64 s[14:15], s[2:3]
	s_cbranch_execz .LBB0_11
; %bb.10:
	v_mul_f32_e32 v212, 0xbe8c1d8e, v40
	v_mov_b32_e32 v34, v212
	v_mul_f32_e32 v213, 0xbf59a7d5, v41
	v_fmac_f32_e32 v34, 0x3f763a35, v142
	v_mov_b32_e32 v35, v213
	v_add_f32_e32 v34, v33, v34
	v_fmac_f32_e32 v35, 0xbf06c442, v145
	v_mul_f32_e32 v170, 0x3f3d2fb0, v43
	v_add_f32_e32 v34, v35, v34
	v_mov_b32_e32 v35, v170
	v_fmac_f32_e32 v35, 0xbf2c7751, v149
	v_mul_f32_e32 v171, 0x3ee437d1, v45
	v_add_f32_e32 v34, v35, v34
	v_mov_b32_e32 v35, v171
	;; [unrolled: 4-line block ×6, first 2 shown]
	v_fmac_f32_e32 v35, 0x3f4c4adb, v189
	v_add_f32_e32 v165, v35, v34
	v_mul_f32_e32 v34, 0xbf763a35, v106
	v_mov_b32_e32 v35, v34
	v_mul_f32_e32 v226, 0x3f06c442, v140
	v_fmac_f32_e32 v35, 0xbe8c1d8e, v38
	v_mov_b32_e32 v36, v226
	v_add_f32_e32 v35, v32, v35
	v_fmac_f32_e32 v36, 0xbf59a7d5, v39
	v_mul_f32_e32 v232, 0x3f2c7751, v144
	v_add_f32_e32 v35, v36, v35
	v_mov_b32_e32 v36, v232
	v_fmac_f32_e32 v36, 0x3f3d2fb0, v42
	v_mul_f32_e32 v244, 0xbf65296c, v148
	v_add_f32_e32 v35, v36, v35
	v_mov_b32_e32 v36, v244
	;; [unrolled: 4-line block ×6, first 2 shown]
	v_fmac_f32_e32 v36, 0xbf1a4643, v64
	v_add_f32_e32 v164, v36, v35
	v_mul_f32_e32 v35, 0xbf59a7d5, v40
	v_mov_b32_e32 v36, v35
	v_mul_f32_e32 v208, 0x3ee437d1, v41
	v_fmac_f32_e32 v36, 0x3f06c442, v142
	v_mov_b32_e32 v37, v208
	v_add_f32_e32 v36, v33, v36
	v_fmac_f32_e32 v37, 0xbf65296c, v145
	v_mul_f32_e32 v209, 0x3dbcf732, v43
	v_add_f32_e32 v36, v37, v36
	v_mov_b32_e32 v37, v209
	v_fmac_f32_e32 v37, 0x3f7ee86f, v149
	v_mul_f32_e32 v210, 0xbf1a4643, v45
	v_add_f32_e32 v36, v37, v36
	v_mov_b32_e32 v37, v210
	;; [unrolled: 4-line block ×7, first 2 shown]
	v_mul_f32_e32 v222, 0x3f65296c, v140
	v_fmac_f32_e32 v36, 0xbf59a7d5, v38
	v_mov_b32_e32 v137, v134
	v_mov_b32_e32 v134, v136
	;; [unrolled: 1-line block ×4, first 2 shown]
	v_add_f32_e32 v36, v32, v36
	v_fmac_f32_e32 v206, 0x3ee437d1, v39
	v_mul_f32_e32 v251, 0xbf7ee86f, v144
	v_add_f32_e32 v36, v206, v36
	v_mov_b32_e32 v206, v251
	v_fmac_f32_e32 v206, 0x3dbcf732, v42
	v_mul_f32_e32 v228, 0x3f4c4adb, v148
	v_add_f32_e32 v36, v206, v36
	v_mov_b32_e32 v206, v228
	;; [unrolled: 4-line block ×7, first 2 shown]
	v_mul_f32_e32 v223, 0x3eb8f4ab, v145
	v_mov_b32_e32 v138, v135
	v_mov_b32_e32 v135, v133
	v_fmac_f32_e32 v206, 0xbf7ba420, v40
	v_mov_b32_e32 v133, v207
	v_mov_b32_e32 v207, v223
	v_add_f32_e32 v206, v33, v206
	v_fmac_f32_e32 v207, 0x3f6eb680, v41
	v_mul_f32_e32 v252, 0xbf06c442, v149
	v_add_f32_e32 v206, v207, v206
	v_mov_b32_e32 v207, v252
	v_fmac_f32_e32 v207, 0xbf59a7d5, v43
	v_mul_f32_e32 v229, 0x3f2c7751, v152
	v_add_f32_e32 v206, v207, v206
	v_mov_b32_e32 v207, v229
	;; [unrolled: 4-line block ×6, first 2 shown]
	v_fmac_f32_e32 v207, 0x3dbcf732, v100
	v_mul_f32_e32 v247, 0xbe3c28d5, v106
	v_add_f32_e32 v207, v207, v206
	v_fma_f32 v206, v38, s22, -v247
	v_mul_f32_e32 v224, 0x3eb8f4ab, v140
	v_fmac_f32_e32 v35, 0xbf06c442, v142
	v_add_f32_e32 v206, v32, v206
	v_fma_f32 v230, v39, s16, -v224
	v_add_f32_e32 v35, v33, v35
	v_fmac_f32_e32 v208, 0x3f65296c, v145
	v_add_f32_e32 v206, v230, v206
	v_mul_f32_e32 v230, 0xbf06c442, v144
	v_add_f32_e32 v35, v208, v35
	v_fmac_f32_e32 v209, 0xbf7ee86f, v149
	v_fma_f32 v166, v42, s24, -v230
	v_mul_f32_e32 v253, 0x3f2c7751, v148
	v_add_f32_e32 v35, v209, v35
	v_fmac_f32_e32 v210, 0x3f4c4adb, v152
	v_add_f32_e32 v166, v166, v206
	v_fma_f32 v206, v44, s18, -v253
	v_mul_f32_e32 v236, 0xbf4c4adb, v151
	v_add_f32_e32 v35, v210, v35
	v_fmac_f32_e32 v211, 0xbeb8f4ab, v157
	v_add_f32_e32 v166, v206, v166
	;; [unrolled: 5-line block ×5, first 2 shown]
	v_fma_f32 v206, v64, s21, -v248
	v_add_f32_e32 v209, v221, v35
	v_fma_f32 v35, v38, s24, -v245
	v_add_f32_e32 v206, v206, v166
	v_add_f32_e32 v35, v32, v35
	v_fma_f32 v166, v39, s19, -v222
	v_add_f32_e32 v35, v166, v35
	v_fma_f32 v166, v42, s21, -v251
	;; [unrolled: 2-line block ×7, first 2 shown]
	v_add_f32_e32 v208, v166, v35
	v_mul_f32_e32 v35, 0xbf4c4adb, v142
	v_mov_b32_e32 v166, v35
	v_mul_f32_e32 v167, 0x3f763a35, v145
	v_fmac_f32_e32 v166, 0xbf1a4643, v40
	v_mov_b32_e32 v210, v167
	v_add_f32_e32 v166, v33, v166
	v_fmac_f32_e32 v210, 0xbe8c1d8e, v41
	v_mul_f32_e32 v217, 0xbeb8f4ab, v149
	v_add_f32_e32 v166, v210, v166
	v_mov_b32_e32 v210, v217
	v_fmac_f32_e32 v210, 0x3f6eb680, v43
	v_mul_f32_e32 v221, 0xbf06c442, v152
	v_add_f32_e32 v166, v210, v166
	v_mov_b32_e32 v210, v221
	v_fmac_f32_e32 v210, 0xbf59a7d5, v45
	v_mul_f32_e32 v222, 0x3f7ee86f, v157
	v_add_f32_e32 v166, v210, v166
	v_mov_b32_e32 v210, v222
	v_fmac_f32_e32 v210, 0x3dbcf732, v56
	v_mul_f32_e32 v228, 0xbf2c7751, v175
	v_add_f32_e32 v166, v210, v166
	v_mov_b32_e32 v210, v228
	v_fmac_f32_e32 v210, 0x3f3d2fb0, v59
	v_mul_f32_e32 v233, 0xbe3c28d5, v185
	v_add_f32_e32 v166, v210, v166
	v_mov_b32_e32 v210, v233
	v_fmac_f32_e32 v210, 0xbf7ba420, v65
	v_mul_f32_e32 v234, 0x3f65296c, v189
	v_add_f32_e32 v166, v210, v166
	v_mov_b32_e32 v210, v234
	v_fmac_f32_e32 v210, 0x3ee437d1, v100
	v_add_f32_e32 v211, v210, v166
	v_mul_f32_e32 v166, 0xbf4c4adb, v106
	v_fma_f32 v210, v38, s20, -v166
	v_mul_f32_e32 v239, 0x3f763a35, v140
	v_add_f32_e32 v210, v32, v210
	v_fma_f32 v240, v39, s23, -v239
	v_add_f32_e32 v210, v240, v210
	v_mul_f32_e32 v240, 0xbeb8f4ab, v144
	v_fma_f32 v245, v42, s16, -v240
	v_add_f32_e32 v210, v245, v210
	v_mul_f32_e32 v245, 0xbf06c442, v148
	;; [unrolled: 3-line block ×5, first 2 shown]
	v_fma_f32 v168, v58, s22, -v231
	v_mul_f32_e32 v225, 0x3f65296c, v184
	v_add_f32_e32 v168, v168, v210
	v_fma_f32 v210, v64, s19, -v225
	v_fmac_f32_e32 v212, 0xbf763a35, v142
	v_add_f32_e32 v210, v210, v168
	v_add_f32_e32 v168, v33, v212
	v_fmac_f32_e32 v213, 0x3f06c442, v145
	v_add_f32_e32 v168, v213, v168
	v_fmac_f32_e32 v170, 0x3f2c7751, v149
	;; [unrolled: 2-line block ×7, first 2 shown]
	v_fma_f32 v34, v38, s23, -v34
	v_add_f32_e32 v213, v220, v96
	v_add_f32_e32 v34, v32, v34
	v_fma_f32 v96, v39, s24, -v226
	v_add_f32_e32 v34, v96, v34
	v_fma_f32 v96, v42, s18, -v232
	;; [unrolled: 2-line block ×7, first 2 shown]
	v_add_f32_e32 v212, v96, v34
	v_mul_f32_e32 v34, 0xbf7ee86f, v142
	v_mov_b32_e32 v96, v34
	v_mul_f32_e32 v142, 0xbe3c28d5, v145
	v_fmac_f32_e32 v96, 0x3dbcf732, v40
	v_mov_b32_e32 v145, v142
	v_add_f32_e32 v96, v33, v96
	v_fmac_f32_e32 v145, 0xbf7ba420, v41
	v_mul_f32_e32 v168, 0x3f763a35, v149
	v_add_f32_e32 v96, v145, v96
	v_mov_b32_e32 v145, v168
	v_fmac_f32_e32 v145, 0xbe8c1d8e, v43
	v_mul_f32_e32 v170, 0x3eb8f4ab, v152
	v_add_f32_e32 v96, v145, v96
	v_mov_b32_e32 v145, v170
	;; [unrolled: 4-line block ×6, first 2 shown]
	v_fmac_f32_e32 v145, 0x3f3d2fb0, v100
	v_add_f32_e32 v145, v145, v96
	v_mul_f32_e32 v96, 0xbf7ee86f, v106
	v_fma_f32 v106, v38, s21, -v96
	v_mul_f32_e32 v140, 0xbe3c28d5, v140
	v_add_f32_e32 v106, v32, v106
	v_fma_f32 v149, v39, s22, -v140
	v_mul_f32_e32 v185, 0x3f763a35, v144
	v_add_f32_e32 v106, v149, v106
	;; [unrolled: 3-line block ×7, first 2 shown]
	v_fma_f32 v144, v64, s18, -v184
	v_add_f32_e32 v144, v144, v106
	v_mul_f32_e32 v106, 0x3ee437d1, v40
	v_add_f32_e32 v106, v195, v106
	v_mul_f32_e32 v148, 0xbf1a4643, v41
	v_add_f32_e32 v106, v33, v106
	v_add_f32_e32 v148, v196, v148
	;; [unrolled: 1-line block ×3, first 2 shown]
	v_mul_f32_e32 v148, 0xbf7ba420, v43
	v_add_f32_e32 v148, v198, v148
	v_add_f32_e32 v106, v148, v106
	v_mul_f32_e32 v148, 0xbe8c1d8e, v45
	v_mul_f32_e32 v243, 0x3f3d2fb0, v56
	v_add_f32_e32 v148, v200, v148
	v_mul_f32_e32 v249, 0x3f6eb680, v59
	v_add_f32_e32 v106, v148, v106
	v_add_f32_e32 v148, v202, v243
	v_mul_f32_e32 v255, 0x3dbcf732, v65
	v_add_f32_e32 v106, v148, v106
	;; [unrolled: 3-line block ×3, first 2 shown]
	v_add_f32_e32 v148, v204, v255
	v_add_f32_e32 v106, v148, v106
	v_add_f32_e32 v148, v205, v169
	v_add_f32_e32 v149, v148, v106
	v_mul_f32_e32 v106, 0x3ee437d1, v38
	v_sub_f32_e32 v106, v106, v190
	v_mul_f32_e32 v148, 0xbf1a4643, v39
	v_add_f32_e32 v106, v32, v106
	v_sub_f32_e32 v148, v148, v191
	v_add_f32_e32 v106, v148, v106
	v_mul_f32_e32 v148, 0xbf7ba420, v42
	v_sub_f32_e32 v148, v148, v192
	v_add_f32_e32 v106, v148, v106
	v_mul_f32_e32 v148, 0xbe8c1d8e, v44
	;; [unrolled: 3-line block ×7, first 2 shown]
	v_add_f32_e32 v106, v176, v106
	v_mul_f32_e32 v151, 0x3dbcf732, v41
	v_add_f32_e32 v106, v33, v106
	v_add_f32_e32 v151, v177, v151
	;; [unrolled: 1-line block ×3, first 2 shown]
	v_mul_f32_e32 v151, 0xbf1a4643, v43
	v_add_f32_e32 v151, v179, v151
	v_add_f32_e32 v106, v151, v106
	v_mul_f32_e32 v151, 0xbf7ba420, v45
	v_add_f32_e32 v151, v181, v151
	v_add_f32_e32 v106, v151, v106
	;; [unrolled: 3-line block ×6, first 2 shown]
	v_mul_f32_e32 v106, 0x3f3d2fb0, v38
	v_sub_f32_e32 v106, v106, v154
	v_mul_f32_e32 v151, 0x3dbcf732, v39
	v_add_f32_e32 v73, v33, v73
	v_add_f32_e32 v106, v32, v106
	v_sub_f32_e32 v151, v151, v158
	v_add_f32_e32 v73, v73, v74
	v_add_f32_e32 v106, v151, v106
	v_mul_f32_e32 v151, 0xbf1a4643, v42
	v_add_f32_e32 v73, v73, v75
	v_sub_f32_e32 v151, v151, v159
	v_add_f32_e32 v73, v73, v76
	v_add_f32_e32 v106, v151, v106
	v_mul_f32_e32 v151, 0xbf7ba420, v44
	;; [unrolled: 5-line block ×7, first 2 shown]
	v_add_f32_e32 v73, v73, v87
	v_add_f32_e32 v98, v98, v106
	v_mul_f32_e32 v106, 0x3f3d2fb0, v41
	v_add_f32_e32 v74, v73, v89
	v_add_f32_e32 v73, v32, v88
	;; [unrolled: 1-line block ×6, first 2 shown]
	v_mul_f32_e32 v99, 0x3ee437d1, v43
	v_add_f32_e32 v73, v73, v91
	v_add_f32_e32 v99, v102, v99
	v_add_f32_e32 v73, v73, v92
	v_add_f32_e32 v98, v99, v98
	v_mul_f32_e32 v99, 0x3dbcf732, v45
	v_add_f32_e32 v73, v73, v93
	v_add_f32_e32 v99, v104, v99
	v_add_f32_e32 v73, v73, v94
	v_add_f32_e32 v98, v99, v98
	v_mul_f32_e32 v99, 0xbe8c1d8e, v56
	v_add_f32_e32 v73, v73, v95
	v_add_f32_e32 v99, v107, v99
	v_add_f32_e32 v47, v73, v47
	v_add_f32_e32 v98, v99, v98
	v_mul_f32_e32 v99, 0xbf1a4643, v59
	v_add_f32_e32 v47, v47, v48
	v_add_f32_e32 v99, v141, v99
	v_add_f32_e32 v47, v47, v49
	v_add_f32_e32 v98, v99, v98
	v_mul_f32_e32 v99, 0xbf59a7d5, v65
	v_add_f32_e32 v47, v47, v50
	v_add_f32_e32 v99, v146, v99
	v_add_f32_e32 v47, v47, v51
	v_add_f32_e32 v98, v99, v98
	v_mul_f32_e32 v99, 0xbf7ba420, v100
	v_add_f32_e32 v47, v47, v52
	v_fma_f32 v35, v40, s20, -v35
	v_add_f32_e32 v99, v150, v99
	v_add_f32_e32 v47, v47, v53
	v_add_f32_e32 v35, v33, v35
	v_fma_f32 v49, v41, s23, -v167
	v_add_f32_e32 v98, v99, v98
	v_mul_f32_e32 v99, 0x3f6eb680, v38
	v_add_f32_e32 v47, v47, v54
	v_add_f32_e32 v35, v49, v35
	v_fma_f32 v49, v43, s16, -v217
	v_sub_f32_e32 v99, v99, v237
	v_mul_f32_e32 v102, 0x3f3d2fb0, v39
	v_add_f32_e32 v73, v47, v55
	v_fma_f32 v47, v40, s22, -v246
	v_add_f32_e32 v35, v49, v35
	v_fma_f32 v49, v45, s24, -v221
	v_add_f32_e32 v99, v32, v99
	v_sub_f32_e32 v97, v102, v97
	v_add_f32_e32 v47, v33, v47
	v_fma_f32 v48, v41, s16, -v223
	v_add_f32_e32 v35, v49, v35
	v_fma_f32 v49, v56, s21, -v222
	v_add_f32_e32 v97, v97, v99
	v_mul_f32_e32 v99, 0x3ee437d1, v42
	v_add_f32_e32 v47, v48, v47
	v_fma_f32 v48, v43, s24, -v252
	v_add_f32_e32 v35, v49, v35
	v_fma_f32 v49, v59, s18, -v228
	v_sub_f32_e32 v99, v99, v101
	v_add_f32_e32 v47, v48, v47
	v_fma_f32 v48, v45, s18, -v229
	v_add_f32_e32 v35, v49, v35
	v_fma_f32 v49, v65, s22, -v233
	v_fma_f32 v34, v40, s21, -v34
	v_add_f32_e32 v97, v99, v97
	v_mul_f32_e32 v99, 0x3dbcf732, v44
	v_add_f32_e32 v47, v48, v47
	v_fma_f32 v48, v56, s20, -v216
	v_add_f32_e32 v35, v49, v35
	v_fma_f32 v49, v100, s19, -v234
	v_fmac_f32_e32 v166, 0xbf1a4643, v38
	v_add_f32_e32 v33, v33, v34
	v_fma_f32 v34, v41, s22, -v142
	v_sub_f32_e32 v99, v99, v103
	v_add_f32_e32 v47, v48, v47
	v_fma_f32 v48, v59, s19, -v235
	v_add_f32_e32 v50, v49, v35
	v_add_f32_e32 v35, v32, v166
	v_fmac_f32_e32 v239, 0xbe8c1d8e, v39
	v_add_f32_e32 v33, v34, v33
	v_fma_f32 v34, v43, s23, -v168
	v_add_f32_e32 v97, v99, v97
	v_mul_f32_e32 v99, 0xbe8c1d8e, v46
	v_add_f32_e32 v47, v48, v47
	v_fma_f32 v48, v65, s23, -v241
	v_add_f32_e32 v35, v239, v35
	v_fmac_f32_e32 v240, 0x3f6eb680, v42
	v_add_f32_e32 v33, v34, v33
	v_fma_f32 v34, v45, s16, -v170
	v_sub_f32_e32 v99, v99, v105
	v_add_f32_e32 v47, v48, v47
	v_fma_f32 v48, v100, s21, -v218
	v_fmac_f32_e32 v247, 0xbf7ba420, v38
	v_add_f32_e32 v35, v240, v35
	v_fmac_f32_e32 v245, 0xbf59a7d5, v44
	v_add_f32_e32 v33, v34, v33
	v_fma_f32 v34, v56, s19, -v157
	v_add_f32_e32 v97, v99, v97
	v_mul_f32_e32 v99, 0xbf1a4643, v57
	v_add_f32_e32 v48, v48, v47
	v_add_f32_e32 v47, v32, v247
	v_fmac_f32_e32 v224, 0x3f6eb680, v39
	v_add_f32_e32 v35, v245, v35
	v_fmac_f32_e32 v251, 0x3dbcf732, v46
	v_add_f32_e32 v33, v34, v33
	v_fma_f32 v34, v59, s24, -v171
	v_fmac_f32_e32 v96, 0x3dbcf732, v38
	v_sub_f32_e32 v99, v99, v139
	v_add_f32_e32 v47, v224, v47
	v_fmac_f32_e32 v230, 0xbf59a7d5, v42
	v_add_f32_e32 v35, v251, v35
	v_fmac_f32_e32 v254, 0x3f3d2fb0, v57
	v_add_f32_e32 v33, v34, v33
	v_fma_f32 v34, v65, s20, -v172
	v_add_f32_e32 v32, v32, v96
	v_fmac_f32_e32 v140, 0xbf7ba420, v39
	v_add_f32_e32 v97, v99, v97
	v_mul_f32_e32 v99, 0xbf59a7d5, v58
	v_add_f32_e32 v47, v230, v47
	v_fmac_f32_e32 v253, 0x3f3d2fb0, v44
	v_add_f32_e32 v35, v254, v35
	v_fmac_f32_e32 v231, 0xbf7ba420, v58
	v_add_f32_e32 v33, v34, v33
	v_fma_f32 v34, v100, s18, -v175
	v_add_f32_e32 v32, v140, v32
	v_fmac_f32_e32 v185, 0xbe8c1d8e, v42
	v_sub_f32_e32 v99, v99, v143
	v_add_f32_e32 v47, v253, v47
	v_fmac_f32_e32 v236, 0xbf1a4643, v46
	v_add_f32_e32 v35, v231, v35
	v_fmac_f32_e32 v225, 0x3ee437d1, v64
	v_add_f32_e32 v33, v34, v33
	v_add_f32_e32 v32, v185, v32
	v_fmac_f32_e32 v189, 0x3f6eb680, v44
	v_lshrrev_b32_e32 v34, 1, v162
	v_add_f32_e32 v97, v99, v97
	v_mul_f32_e32 v99, 0xbf7ba420, v64
	v_add_f32_e32 v47, v236, v47
	v_fmac_f32_e32 v242, 0x3ee437d1, v57
	v_add_f32_e32 v49, v225, v35
	v_add_f32_e32 v32, v189, v32
	v_fmac_f32_e32 v214, 0x3ee437d1, v46
	v_mul_u32_u24_e32 v34, 34, v34
	v_and_b32_e32 v35, 1, v162
	v_sub_f32_e32 v99, v99, v147
	v_add_f32_e32 v47, v242, v47
	v_fmac_f32_e32 v219, 0xbe8c1d8e, v58
	v_add_f32_e32 v32, v214, v32
	v_fmac_f32_e32 v153, 0xbf59a7d5, v57
	v_or_b32_e32 v34, v34, v35
	v_add_f32_e32 v97, v99, v97
	v_add_f32_e32 v47, v219, v47
	v_fmac_f32_e32 v248, 0x3dbcf732, v64
	v_add_f32_e32 v32, v153, v32
	v_fmac_f32_e32 v173, 0xbf1a4643, v58
	v_lshl_add_u32 v34, v34, 3, v163
	v_add_f32_e32 v47, v248, v47
	v_add_f32_e32 v32, v173, v32
	v_fmac_f32_e32 v184, 0x3f3d2fb0, v64
	ds_write2_b64 v34, v[73:74], v[97:98] offset1:2
	ds_write2_b64 v34, v[151:152], v[148:149] offset0:4 offset1:6
	ds_write2_b64 v34, v[144:145], v[212:213] offset0:8 offset1:10
	;; [unrolled: 1-line block ×4, first 2 shown]
	v_mov_b32_e32 v207, v133
	v_mov_b32_e32 v206, v136
	;; [unrolled: 1-line block ×6, first 2 shown]
	v_lshl_add_u32 v137, v68, 4, v163
	v_lshl_add_u32 v138, v67, 4, v163
	v_add_f32_e32 v32, v184, v32
	ds_write2_b64 v34, v[36:37], v[49:50] offset0:20 offset1:22
	ds_write2_b64 v34, v[164:165], v[32:33] offset0:24 offset1:26
	;; [unrolled: 1-line block ×3, first 2 shown]
	ds_write_b64 v34, v[155:156] offset:256
.LBB0_11:
	s_or_b64 exec, exec, s[14:15]
	v_add_u32_e32 v40, 0x800, v161
	v_add_u32_e32 v41, 0x1000, v161
	s_waitcnt lgkmcnt(0)
	s_barrier
	ds_read2_b64 v[36:39], v161 offset1:68
	ds_read2_b64 v[32:35], v40 offset0:152 offset1:254
	ds_read2_b64 v[48:51], v41 offset0:66 offset1:134
	;; [unrolled: 1-line block ×3, first 2 shown]
	v_add_u32_e32 v41, 0x1400, v161
	v_add_u32_e32 v56, 0x1800, v161
	ds_read2_b64 v[52:55], v41 offset0:74 offset1:142
	ds_read2_b64 v[40:43], v40 offset0:16 offset1:84
	;; [unrolled: 1-line block ×3, first 2 shown]
	v_lshlrev_b32_e32 v64, 1, v162
	s_and_saveexec_b64 s[14:15], s[0:1]
	s_cbranch_execz .LBB0_13
; %bb.12:
	ds_read_b64 v[60:61], v161 offset:3808
	ds_read_b64 v[62:63], v161 offset:7888
.LBB0_13:
	s_or_b64 exec, exec, s[14:15]
	v_add_co_u32_e32 v65, vcc, 0xffffffde, v162
	v_addc_co_u32_e64 v73, s[14:15], 0, -1, vcc
	v_cndmask_b32_e64 v75, v73, 0, s[0:1]
	v_cndmask_b32_e64 v74, v65, v162, s[0:1]
	v_lshlrev_b64 v[75:76], 3, v[74:75]
	s_movk_i32 s14, 0xf1
	v_mul_lo_u16_sdwa v73, v68, s14 dst_sel:DWORD dst_unused:UNUSED_PAD src0_sel:BYTE_0 src1_sel:DWORD
	v_mov_b32_e32 v65, s5
	v_add_co_u32_e32 v75, vcc, s4, v75
	v_lshrrev_b16_e32 v80, 13, v73
	v_addc_co_u32_e32 v76, vcc, v65, v76, vcc
	v_mul_lo_u16_sdwa v65, v66, s14 dst_sel:DWORD dst_unused:UNUSED_PAD src0_sel:BYTE_0 src1_sel:DWORD
	v_mul_lo_u16_e32 v73, 34, v80
	s_mov_b32 s14, 0xf0f1
	v_sub_u16_e32 v81, v68, v73
	v_mul_u32_u24_sdwa v73, v67, s14 dst_sel:DWORD dst_unused:UNUSED_PAD src0_sel:WORD_0 src1_sel:DWORD
	v_lshrrev_b16_e32 v77, 13, v65
	v_lshrrev_b32_e32 v82, 21, v73
	v_mul_lo_u16_e32 v65, 34, v77
	v_mul_lo_u16_e32 v83, 34, v82
	v_sub_u16_e32 v78, v66, v65
	v_mov_b32_e32 v65, 3
	v_sub_u16_e32 v83, v67, v83
	v_lshlrev_b32_sdwa v79, v65, v78 dst_sel:DWORD dst_unused:UNUSED_PAD src0_sel:DWORD src1_sel:BYTE_0
	v_lshlrev_b32_sdwa v65, v65, v81 dst_sel:DWORD dst_unused:UNUSED_PAD src0_sel:DWORD src1_sel:BYTE_0
	v_lshlrev_b32_e32 v84, 3, v83
	global_load_dwordx2 v[147:148], v[75:76], off offset:256
	global_load_dwordx2 v[145:146], v79, s[4:5] offset:256
	global_load_dwordx2 v[143:144], v65, s[4:5] offset:256
	;; [unrolled: 1-line block ×3, first 2 shown]
	v_mul_u32_u24_sdwa v65, v69, s14 dst_sel:DWORD dst_unused:UNUSED_PAD src0_sel:WORD_0 src1_sel:DWORD
	v_mul_u32_u24_sdwa v84, v72, s14 dst_sel:DWORD dst_unused:UNUSED_PAD src0_sel:WORD_0 src1_sel:DWORD
	v_lshrrev_b32_e32 v75, 21, v65
	v_lshrrev_b32_e32 v84, 21, v84
	v_mul_lo_u16_e32 v76, 34, v75
	v_mul_lo_u16_e32 v85, 34, v84
	v_sub_u16_e32 v76, v69, v76
	v_sub_u16_e32 v72, v72, v85
	v_mul_u32_u24_sdwa v86, v71, s14 dst_sel:DWORD dst_unused:UNUSED_PAD src0_sel:WORD_0 src1_sel:DWORD
	v_mul_u32_u24_sdwa v88, v70, s14 dst_sel:DWORD dst_unused:UNUSED_PAD src0_sel:WORD_0 src1_sel:DWORD
	v_lshlrev_b32_e32 v79, 3, v76
	v_lshlrev_b32_e32 v85, 3, v72
	v_lshrrev_b32_e32 v86, 21, v86
	v_lshrrev_b32_e32 v88, 21, v88
	v_mul_lo_u16_e32 v87, 34, v86
	global_load_dwordx2 v[153:154], v79, s[4:5] offset:256
	global_load_dwordx2 v[151:152], v85, s[4:5] offset:256
	v_mul_lo_u16_e32 v79, 34, v88
	v_sub_u16_e32 v71, v71, v87
	v_sub_u16_e32 v70, v70, v79
	v_lshlrev_b32_e32 v87, 3, v71
	v_lshlrev_b32_e32 v79, 3, v70
	global_load_dwordx2 v[149:150], v87, s[4:5] offset:256
	global_load_dwordx2 v[139:140], v79, s[4:5] offset:256
	v_cmp_lt_u16_e32 vcc, 33, v162
	s_waitcnt vmcnt(0) lgkmcnt(0)
	s_barrier
	s_movk_i32 s14, 0x44
	v_lshl_add_u32 v174, v70, 3, v163
	v_mul_f32_e32 v79, v35, v148
	v_mul_f32_e32 v85, v34, v148
	v_fma_f32 v34, v34, v147, -v79
	v_fmac_f32_e32 v85, v35, v147
	v_sub_f32_e32 v34, v36, v34
	v_sub_f32_e32 v35, v37, v85
	v_fma_f32 v36, v36, 2.0, -v34
	v_fma_f32 v37, v37, 2.0, -v35
	v_mul_f32_e32 v87, v49, v146
	v_mul_f32_e32 v88, v48, v146
	;; [unrolled: 1-line block ×6, first 2 shown]
	v_fma_f32 v48, v48, v145, -v87
	v_fmac_f32_e32 v88, v49, v145
	v_fma_f32 v50, v50, v143, -v89
	v_fmac_f32_e32 v90, v51, v143
	v_fma_f32 v52, v52, v141, -v91
	v_mul_f32_e32 v93, v55, v154
	v_mul_f32_e32 v94, v54, v154
	;; [unrolled: 1-line block ×4, first 2 shown]
	v_fmac_f32_e32 v92, v53, v141
	v_fma_f32 v54, v54, v153, -v93
	v_fmac_f32_e32 v94, v55, v153
	v_mul_f32_e32 v97, v59, v150
	v_mul_f32_e32 v99, v63, v140
	v_fma_f32 v79, v62, v139, -v99
	v_mul_f32_e32 v62, v62, v140
	v_fmac_f32_e32 v62, v63, v139
	v_sub_f32_e32 v158, v61, v62
	v_mov_b32_e32 v62, 0x44
	v_cndmask_b32_e32 v62, 0, v62, vcc
	v_add_u32_e32 v62, v74, v62
	v_lshl_add_u32 v173, v62, 3, v163
	ds_write2_b64 v173, v[36:37], v[34:35] offset1:34
	v_mul_u32_u24_e32 v34, 0x44, v77
	v_add_u32_sdwa v34, v34, v78 dst_sel:DWORD dst_unused:UNUSED_PAD src0_sel:DWORD src1_sel:BYTE_0
	v_lshl_add_u32 v175, v34, 3, v163
	v_mul_u32_u24_e32 v34, 0x44, v80
	v_add_u32_sdwa v34, v34, v81 dst_sel:DWORD dst_unused:UNUSED_PAD src0_sel:DWORD src1_sel:BYTE_0
	v_lshl_add_u32 v176, v34, 3, v163
	v_mad_legacy_u16 v34, v82, s14, v83
	v_mul_f32_e32 v98, v58, v150
	v_lshl_add_u32 v177, v34, 3, v163
	v_mad_legacy_u16 v34, v75, s14, v76
	v_fma_f32 v56, v56, v151, -v95
	v_fmac_f32_e32 v96, v57, v151
	v_fma_f32 v58, v58, v149, -v97
	v_fmac_f32_e32 v98, v59, v149
	v_lshl_add_u32 v178, v34, 3, v163
	v_mad_legacy_u16 v34, v84, s14, v72
	v_sub_f32_e32 v48, v38, v48
	v_sub_f32_e32 v49, v39, v88
	;; [unrolled: 1-line block ×12, first 2 shown]
	v_lshl_add_u32 v179, v34, 3, v163
	v_mad_legacy_u16 v34, v86, s14, v71
	v_fma_f32 v38, v38, 2.0, -v48
	v_fma_f32 v39, v39, 2.0, -v49
	;; [unrolled: 1-line block ×12, first 2 shown]
	v_sub_f32_e32 v157, v60, v79
	v_lshl_add_u32 v180, v34, 3, v163
	ds_write2_b64 v175, v[38:39], v[48:49] offset1:34
	ds_write2_b64 v176, v[44:45], v[50:51] offset1:34
	;; [unrolled: 1-line block ×6, first 2 shown]
	s_and_saveexec_b64 s[14:15], s[0:1]
	s_cbranch_execz .LBB0_15
; %bb.14:
	v_fma_f32 v33, v61, 2.0, -v158
	v_fma_f32 v32, v60, 2.0, -v157
	v_add_u32_e32 v34, 0x1800, v174
	ds_write2_b64 v34, v[32:33], v[157:158] offset0:184 offset1:218
.LBB0_15:
	s_or_b64 exec, exec, s[14:15]
	v_lshrrev_b32_e32 v36, 22, v73
	v_mul_lo_u16_e32 v36, 0x44, v36
	s_movk_i32 s14, 0x79
	v_lshlrev_b32_e32 v32, 3, v64
	v_lshrrev_b32_e32 v37, 22, v65
	v_sub_u16_e32 v67, v67, v36
	v_mul_lo_u16_sdwa v44, v68, s14 dst_sel:DWORD dst_unused:UNUSED_PAD src0_sel:BYTE_0 src1_sel:DWORD
	s_waitcnt lgkmcnt(0)
	s_barrier
	global_load_dwordx4 v[32:35], v32, s[4:5] offset:528
	v_mul_lo_u16_e32 v37, 0x44, v37
	v_lshlrev_b16_e32 v36, 4, v67
	v_lshrrev_b16_e32 v44, 13, v44
	v_mov_b32_e32 v38, s5
	v_sub_u16_e32 v73, v69, v37
	v_add_co_u32_e32 v36, vcc, s4, v36
	v_mul_lo_u16_e32 v44, 0x44, v44
	v_lshlrev_b16_e32 v39, 4, v73
	v_addc_co_u32_e32 v37, vcc, 0, v38, vcc
	v_sub_u16_e32 v44, v68, v44
	global_load_dwordx4 v[40:43], v[36:37], off offset:528
	v_add_co_u32_e32 v36, vcc, s4, v39
	v_and_b32_e32 v85, 0xff, v44
	v_addc_co_u32_e32 v37, vcc, 0, v38, vcc
	v_lshlrev_b32_e32 v44, 4, v85
	global_load_dwordx4 v[44:47], v44, s[4:5] offset:528
	ds_read2_b64 v[48:51], v161 offset1:68
	global_load_dwordx4 v[36:39], v[36:37], off offset:528
	v_add_u32_e32 v74, 0x800, v161
	v_add_u32_e32 v76, 0x1000, v161
	ds_read2_b64 v[52:55], v161 offset0:136 offset1:204
	v_add_u32_e32 v75, 0x1800, v161
	ds_read_b64 v[64:65], v161 offset:7616
	ds_read2_b64 v[56:59], v74 offset0:16 offset1:84
	ds_read2_b64 v[60:63], v76 offset0:168 offset1:236
	;; [unrolled: 1-line block ×5, first 2 shown]
	v_lshl_add_u32 v181, v85, 3, v163
	s_waitcnt vmcnt(0) lgkmcnt(0)
	s_barrier
	v_lshl_add_u32 v182, v67, 3, v163
	v_lshl_add_u32 v183, v73, 3, v163
	v_mul_f32_e32 v86, v59, v33
	v_mul_f32_e32 v88, v61, v35
	;; [unrolled: 1-line block ×3, first 2 shown]
	v_fma_f32 v86, v58, v32, -v86
	v_fma_f32 v88, v60, v34, -v88
	v_mul_f32_e32 v89, v60, v35
	v_fmac_f32_e32 v87, v59, v32
	v_add_f32_e32 v59, v86, v88
	v_fmac_f32_e32 v89, v61, v34
	v_add_f32_e32 v58, v48, v86
	v_fma_f32 v48, -0.5, v59, v48
	v_mul_f32_e32 v90, v70, v33
	v_mul_f32_e32 v91, v69, v33
	;; [unrolled: 1-line block ×4, first 2 shown]
	v_sub_f32_e32 v61, v87, v89
	v_mul_f32_e32 v59, v82, v41
	v_mov_b32_e32 v60, v48
	v_fma_f32 v69, v69, v32, -v90
	v_fmac_f32_e32 v91, v70, v32
	v_fma_f32 v70, v62, v34, -v92
	v_fmac_f32_e32 v93, v63, v34
	v_mul_f32_e32 v90, v81, v41
	v_mul_f32_e32 v62, v80, v43
	;; [unrolled: 1-line block ×3, first 2 shown]
	v_fma_f32 v81, v81, v40, -v59
	v_mul_f32_e32 v59, v72, v45
	v_fmac_f32_e32 v60, 0x3f5db3d7, v61
	v_fmac_f32_e32 v48, 0xbf5db3d7, v61
	v_add_f32_e32 v61, v87, v89
	v_mul_f32_e32 v92, v79, v43
	v_mul_f32_e32 v94, v83, v37
	v_fmac_f32_e32 v90, v82, v40
	v_fma_f32 v82, v79, v42, -v62
	v_fma_f32 v97, v83, v36, -v63
	v_mul_f32_e32 v79, v71, v45
	v_mul_f32_e32 v62, v78, v47
	v_fma_f32 v83, v71, v44, -v59
	v_add_f32_e32 v59, v49, v87
	v_fma_f32 v49, -0.5, v61, v49
	v_fmac_f32_e32 v79, v72, v44
	v_fma_f32 v72, v77, v46, -v62
	v_sub_f32_e32 v62, v86, v88
	v_mov_b32_e32 v61, v49
	v_add_f32_e32 v63, v69, v70
	v_mul_f32_e32 v95, v65, v39
	v_mul_f32_e32 v96, v64, v39
	v_fmac_f32_e32 v61, 0xbf5db3d7, v62
	v_fmac_f32_e32 v49, 0x3f5db3d7, v62
	v_add_f32_e32 v62, v50, v69
	v_fma_f32 v50, -0.5, v63, v50
	v_fmac_f32_e32 v94, v84, v36
	v_fma_f32 v84, v64, v38, -v95
	v_fmac_f32_e32 v96, v65, v38
	v_sub_f32_e32 v63, v91, v93
	v_mov_b32_e32 v64, v50
	v_add_f32_e32 v65, v91, v93
	v_fmac_f32_e32 v64, 0x3f5db3d7, v63
	v_fmac_f32_e32 v50, 0xbf5db3d7, v63
	v_add_f32_e32 v63, v51, v91
	v_fmac_f32_e32 v51, -0.5, v65
	v_fmac_f32_e32 v92, v80, v42
	v_mul_f32_e32 v80, v77, v47
	v_add_f32_e32 v62, v62, v70
	v_sub_f32_e32 v69, v69, v70
	v_mov_b32_e32 v65, v51
	v_add_f32_e32 v70, v83, v72
	v_fmac_f32_e32 v80, v78, v46
	v_fmac_f32_e32 v65, 0xbf5db3d7, v69
	;; [unrolled: 1-line block ×3, first 2 shown]
	v_add_f32_e32 v69, v52, v83
	v_fma_f32 v52, -0.5, v70, v52
	v_sub_f32_e32 v70, v79, v80
	v_mov_b32_e32 v71, v52
	v_add_f32_e32 v77, v79, v80
	v_fmac_f32_e32 v71, 0x3f5db3d7, v70
	v_fmac_f32_e32 v52, 0xbf5db3d7, v70
	v_add_f32_e32 v70, v53, v79
	v_fma_f32 v53, -0.5, v77, v53
	v_add_f32_e32 v69, v69, v72
	v_sub_f32_e32 v77, v83, v72
	v_mov_b32_e32 v72, v53
	v_add_f32_e32 v78, v81, v82
	v_fmac_f32_e32 v72, 0xbf5db3d7, v77
	v_fmac_f32_e32 v53, 0x3f5db3d7, v77
	v_add_f32_e32 v77, v54, v81
	v_fma_f32 v54, -0.5, v78, v54
	v_add_f32_e32 v70, v70, v80
	v_sub_f32_e32 v78, v90, v92
	v_mov_b32_e32 v79, v54
	v_add_f32_e32 v80, v90, v92
	v_fmac_f32_e32 v79, 0x3f5db3d7, v78
	v_fmac_f32_e32 v54, 0xbf5db3d7, v78
	v_add_f32_e32 v78, v55, v90
	v_fmac_f32_e32 v55, -0.5, v80
	v_add_f32_e32 v77, v77, v82
	v_sub_f32_e32 v81, v81, v82
	v_mov_b32_e32 v80, v55
	v_add_f32_e32 v82, v97, v84
	v_fmac_f32_e32 v80, 0xbf5db3d7, v81
	v_fmac_f32_e32 v55, 0x3f5db3d7, v81
	v_add_f32_e32 v81, v56, v97
	v_fma_f32 v56, -0.5, v82, v56
	v_add_f32_e32 v58, v58, v88
	v_add_f32_e32 v59, v59, v89
	v_sub_f32_e32 v82, v94, v96
	v_mov_b32_e32 v83, v56
	v_add_f32_e32 v86, v94, v96
	v_add_f32_e32 v63, v63, v93
	v_fmac_f32_e32 v83, 0x3f5db3d7, v82
	v_fmac_f32_e32 v56, 0xbf5db3d7, v82
	v_add_f32_e32 v82, v57, v94
	v_fmac_f32_e32 v57, -0.5, v86
	ds_write2_b64 v161, v[58:59], v[60:61] offset1:68
	ds_write2_b64 v161, v[48:49], v[62:63] offset0:136 offset1:204
	ds_write2_b64 v74, v[64:65], v[50:51] offset0:16 offset1:84
	v_add_u32_e32 v48, 0x800, v181
	v_add_f32_e32 v78, v78, v92
	v_add_f32_e32 v81, v81, v84
	v_sub_f32_e32 v86, v97, v84
	v_mov_b32_e32 v84, v57
	ds_write2_b64 v48, v[69:70], v[71:72] offset0:152 offset1:220
	ds_write_b64 v181, v[52:53] offset:4352
	v_add_u32_e32 v48, 0x1000, v182
	v_add_f32_e32 v82, v82, v96
	v_fmac_f32_e32 v84, 0xbf5db3d7, v86
	ds_write2_b64 v48, v[77:78], v[79:80] offset0:100 offset1:168
	ds_write_b64 v182, v[54:55] offset:5984
	v_add_u32_e32 v48, 0x1800, v183
	v_fmac_f32_e32 v57, 0x3f5db3d7, v86
	ds_write2_b64 v48, v[81:82], v[83:84] offset0:48 offset1:116
	ds_write_b64 v183, v[56:57] offset:7616
	v_lshlrev_b32_e32 v48, 5, v162
	s_waitcnt lgkmcnt(0)
	s_barrier
	global_load_dwordx4 v[60:63], v48, s[4:5] offset:1616
	s_nop 0
	global_load_dwordx4 v[48:51], v48, s[4:5] offset:1632
	v_lshlrev_b32_e32 v52, 5, v66
	global_load_dwordx4 v[64:67], v52, s[4:5] offset:1616
	s_nop 0
	global_load_dwordx4 v[52:55], v52, s[4:5] offset:1632
	v_lshlrev_b32_e32 v56, 5, v68
	global_load_dwordx4 v[68:71], v56, s[4:5] offset:1616
	s_nop 0
	global_load_dwordx4 v[56:59], v56, s[4:5] offset:1632
	v_mov_b32_e32 v72, s17
	v_addc_co_u32_e64 v105, vcc, 0, v72, s[6:7]
	ds_read2_b64 v[77:80], v161 offset1:68
	ds_read2_b64 v[81:84], v161 offset0:136 offset1:204
	ds_read2_b64 v[85:88], v74 offset0:152 offset1:220
	;; [unrolled: 1-line block ×6, first 2 shown]
	ds_read_b64 v[72:73], v161 offset:7616
	s_movk_i32 s4, 0x1000
	s_movk_i32 s5, 0x1fe0
	s_waitcnt vmcnt(5) lgkmcnt(6)
	v_mul_f32_e32 v106, v84, v61
	v_fma_f32 v106, v83, v60, -v106
	v_mul_f32_e32 v107, v83, v61
	s_waitcnt lgkmcnt(5)
	v_mul_f32_e32 v83, v86, v63
	v_fma_f32 v159, v85, v62, -v83
	s_waitcnt vmcnt(4) lgkmcnt(4)
	v_mul_f32_e32 v83, v92, v49
	v_mul_f32_e32 v160, v85, v63
	v_fma_f32 v164, v91, v48, -v83
	v_mul_f32_e32 v91, v91, v49
	s_waitcnt lgkmcnt(3)
	v_mul_f32_e32 v83, v94, v51
	v_fmac_f32_e32 v160, v86, v62
	v_fmac_f32_e32 v91, v92, v48
	v_fma_f32 v86, v93, v50, -v83
	v_mul_f32_e32 v92, v93, v51
	s_waitcnt vmcnt(3) lgkmcnt(2)
	v_mul_f32_e32 v83, v98, v65
	v_fmac_f32_e32 v92, v94, v50
	v_fma_f32 v94, v97, v64, -v83
	v_mul_f32_e32 v97, v97, v65
	v_mul_f32_e32 v83, v88, v67
	v_fmac_f32_e32 v97, v98, v64
	v_fma_f32 v98, v87, v66, -v83
	s_waitcnt vmcnt(2) lgkmcnt(1)
	v_mul_f32_e32 v83, v102, v53
	v_fma_f32 v166, v101, v52, -v83
	v_mul_f32_e32 v101, v101, v53
	v_mul_f32_e32 v83, v96, v55
	v_fmac_f32_e32 v101, v102, v52
	v_fma_f32 v102, v95, v54, -v83
	s_waitcnt vmcnt(1)
	v_mul_f32_e32 v83, v100, v69
	v_fma_f32 v168, v99, v68, -v83
	v_mul_f32_e32 v83, v90, v71
	v_fma_f32 v170, v89, v70, -v83
	s_waitcnt vmcnt(0)
	v_mul_f32_e32 v83, v104, v57
	v_fma_f32 v172, v103, v56, -v83
	v_mul_f32_e32 v103, v103, v57
	v_fmac_f32_e32 v103, v104, v56
	s_waitcnt lgkmcnt(0)
	v_mul_f32_e32 v104, v72, v59
	v_mul_f32_e32 v169, v99, v69
	;; [unrolled: 1-line block ×3, first 2 shown]
	v_fmac_f32_e32 v104, v73, v58
	v_add_f32_e32 v73, v159, v164
	v_fmac_f32_e32 v107, v84, v60
	v_fmac_f32_e32 v169, v100, v68
	v_fma_f32 v100, v72, v58, -v83
	v_fma_f32 v83, -0.5, v73, v77
	v_mul_f32_e32 v165, v87, v67
	v_sub_f32_e32 v73, v107, v92
	v_mov_b32_e32 v85, v83
	v_fmac_f32_e32 v165, v88, v66
	v_fmac_f32_e32 v85, 0x3f737871, v73
	v_sub_f32_e32 v84, v160, v91
	v_sub_f32_e32 v87, v106, v159
	;; [unrolled: 1-line block ×3, first 2 shown]
	v_fmac_f32_e32 v83, 0xbf737871, v73
	v_fmac_f32_e32 v85, 0x3f167918, v84
	v_add_f32_e32 v87, v87, v88
	v_fmac_f32_e32 v83, 0xbf167918, v84
	v_fmac_f32_e32 v85, 0x3e9e377a, v87
	;; [unrolled: 1-line block ×3, first 2 shown]
	v_add_f32_e32 v87, v106, v86
	v_add_f32_e32 v72, v77, v106
	v_fma_f32 v77, -0.5, v87, v77
	v_mov_b32_e32 v87, v77
	v_add_f32_e32 v72, v72, v159
	v_fmac_f32_e32 v87, 0xbf737871, v84
	v_fmac_f32_e32 v77, 0x3f737871, v84
	v_add_f32_e32 v84, v160, v91
	v_mul_f32_e32 v171, v89, v71
	v_add_f32_e32 v72, v72, v164
	v_sub_f32_e32 v88, v159, v106
	v_sub_f32_e32 v89, v164, v86
	v_fma_f32 v84, -0.5, v84, v78
	v_add_f32_e32 v72, v72, v86
	v_fmac_f32_e32 v87, 0x3f167918, v73
	v_add_f32_e32 v88, v88, v89
	v_fmac_f32_e32 v77, 0xbf167918, v73
	v_sub_f32_e32 v89, v106, v86
	v_mov_b32_e32 v86, v84
	v_fmac_f32_e32 v171, v90, v70
	v_fmac_f32_e32 v87, 0x3e9e377a, v88
	;; [unrolled: 1-line block ×4, first 2 shown]
	v_sub_f32_e32 v90, v159, v164
	v_sub_f32_e32 v88, v107, v160
	;; [unrolled: 1-line block ×3, first 2 shown]
	v_fmac_f32_e32 v84, 0x3f737871, v89
	v_fmac_f32_e32 v86, 0xbf167918, v90
	v_add_f32_e32 v88, v88, v93
	v_fmac_f32_e32 v84, 0x3f167918, v90
	v_fmac_f32_e32 v86, 0x3e9e377a, v88
	;; [unrolled: 1-line block ×3, first 2 shown]
	v_add_f32_e32 v88, v107, v92
	v_add_f32_e32 v73, v78, v107
	v_fma_f32 v78, -0.5, v88, v78
	v_add_f32_e32 v73, v73, v160
	v_mov_b32_e32 v88, v78
	v_add_f32_e32 v73, v73, v91
	v_fmac_f32_e32 v88, 0x3f737871, v90
	v_sub_f32_e32 v93, v160, v107
	v_sub_f32_e32 v91, v91, v92
	v_fmac_f32_e32 v78, 0xbf737871, v90
	v_mul_f32_e32 v167, v95, v55
	v_fmac_f32_e32 v88, 0xbf167918, v89
	v_add_f32_e32 v91, v93, v91
	v_fmac_f32_e32 v78, 0x3f167918, v89
	v_add_f32_e32 v90, v98, v166
	v_fmac_f32_e32 v167, v96, v54
	v_fmac_f32_e32 v88, 0x3e9e377a, v91
	;; [unrolled: 1-line block ×3, first 2 shown]
	v_fma_f32 v91, -0.5, v90, v79
	v_sub_f32_e32 v90, v97, v167
	v_mov_b32_e32 v93, v91
	v_add_f32_e32 v73, v73, v92
	v_fmac_f32_e32 v93, 0x3f737871, v90
	v_sub_f32_e32 v92, v165, v101
	v_sub_f32_e32 v95, v94, v98
	v_sub_f32_e32 v96, v102, v166
	v_fmac_f32_e32 v91, 0xbf737871, v90
	v_fmac_f32_e32 v93, 0x3f167918, v92
	v_add_f32_e32 v95, v95, v96
	v_fmac_f32_e32 v91, 0xbf167918, v92
	v_fmac_f32_e32 v93, 0x3e9e377a, v95
	v_fmac_f32_e32 v91, 0x3e9e377a, v95
	v_add_f32_e32 v95, v94, v102
	v_add_f32_e32 v89, v79, v94
	v_fma_f32 v79, -0.5, v95, v79
	v_mov_b32_e32 v95, v79
	v_fmac_f32_e32 v95, 0xbf737871, v92
	v_fmac_f32_e32 v79, 0x3f737871, v92
	v_add_f32_e32 v92, v165, v101
	v_add_f32_e32 v89, v89, v98
	v_sub_f32_e32 v96, v98, v94
	v_sub_f32_e32 v99, v166, v102
	v_fma_f32 v92, -0.5, v92, v80
	v_add_f32_e32 v89, v89, v166
	v_fmac_f32_e32 v95, 0x3f167918, v90
	v_add_f32_e32 v96, v96, v99
	v_fmac_f32_e32 v79, 0xbf167918, v90
	v_sub_f32_e32 v99, v94, v102
	v_mov_b32_e32 v94, v92
	v_add_f32_e32 v89, v89, v102
	v_fmac_f32_e32 v95, 0x3e9e377a, v96
	v_fmac_f32_e32 v79, 0x3e9e377a, v96
	;; [unrolled: 1-line block ×3, first 2 shown]
	v_sub_f32_e32 v98, v98, v166
	v_sub_f32_e32 v96, v97, v165
	;; [unrolled: 1-line block ×3, first 2 shown]
	v_fmac_f32_e32 v92, 0x3f737871, v99
	v_fmac_f32_e32 v94, 0xbf167918, v98
	v_add_f32_e32 v96, v96, v102
	v_fmac_f32_e32 v92, 0x3f167918, v98
	v_fmac_f32_e32 v94, 0x3e9e377a, v96
	;; [unrolled: 1-line block ×3, first 2 shown]
	v_add_f32_e32 v96, v97, v167
	v_add_f32_e32 v90, v80, v97
	v_fmac_f32_e32 v80, -0.5, v96
	v_mov_b32_e32 v96, v80
	v_fmac_f32_e32 v96, 0x3f737871, v98
	v_fmac_f32_e32 v80, 0xbf737871, v98
	v_add_f32_e32 v98, v170, v172
	v_add_f32_e32 v90, v90, v165
	v_fma_f32 v159, -0.5, v98, v81
	v_add_f32_e32 v90, v90, v101
	v_fmac_f32_e32 v96, 0xbf167918, v99
	v_sub_f32_e32 v97, v165, v97
	v_sub_f32_e32 v101, v101, v167
	v_fmac_f32_e32 v80, 0x3f167918, v99
	v_sub_f32_e32 v98, v169, v104
	v_mov_b32_e32 v99, v159
	v_add_f32_e32 v97, v97, v101
	v_fmac_f32_e32 v99, 0x3f737871, v98
	v_sub_f32_e32 v102, v171, v103
	v_sub_f32_e32 v101, v168, v170
	;; [unrolled: 1-line block ×3, first 2 shown]
	v_fmac_f32_e32 v159, 0xbf737871, v98
	v_fmac_f32_e32 v99, 0x3f167918, v102
	v_add_f32_e32 v101, v101, v106
	v_fmac_f32_e32 v159, 0xbf167918, v102
	v_fmac_f32_e32 v99, 0x3e9e377a, v101
	;; [unrolled: 1-line block ×3, first 2 shown]
	v_add_f32_e32 v101, v168, v100
	v_fmac_f32_e32 v96, 0x3e9e377a, v97
	v_fmac_f32_e32 v80, 0x3e9e377a, v97
	v_add_f32_e32 v97, v81, v168
	v_fma_f32 v81, -0.5, v101, v81
	v_mov_b32_e32 v101, v81
	v_add_f32_e32 v97, v97, v170
	v_fmac_f32_e32 v101, 0xbf737871, v102
	v_sub_f32_e32 v106, v170, v168
	v_sub_f32_e32 v107, v172, v100
	v_fmac_f32_e32 v81, 0x3f737871, v102
	v_add_f32_e32 v102, v171, v103
	v_add_f32_e32 v97, v97, v172
	v_fmac_f32_e32 v101, 0x3f167918, v98
	v_add_f32_e32 v106, v106, v107
	v_fmac_f32_e32 v81, 0xbf167918, v98
	v_fma_f32 v160, -0.5, v102, v82
	v_add_f32_e32 v97, v97, v100
	v_fmac_f32_e32 v101, 0x3e9e377a, v106
	v_fmac_f32_e32 v81, 0x3e9e377a, v106
	v_sub_f32_e32 v106, v168, v100
	v_mov_b32_e32 v100, v160
	v_fmac_f32_e32 v100, 0xbf737871, v106
	v_sub_f32_e32 v107, v170, v172
	v_sub_f32_e32 v102, v169, v171
	;; [unrolled: 1-line block ×3, first 2 shown]
	v_fmac_f32_e32 v160, 0x3f737871, v106
	v_fmac_f32_e32 v100, 0xbf167918, v107
	v_add_f32_e32 v102, v102, v164
	v_fmac_f32_e32 v160, 0x3f167918, v107
	v_fmac_f32_e32 v100, 0x3e9e377a, v102
	;; [unrolled: 1-line block ×3, first 2 shown]
	v_add_f32_e32 v102, v169, v104
	v_add_f32_e32 v98, v82, v169
	v_fmac_f32_e32 v82, -0.5, v102
	v_add_f32_e32 v98, v98, v171
	v_mov_b32_e32 v102, v82
	v_add_f32_e32 v98, v98, v103
	v_fmac_f32_e32 v102, 0x3f737871, v107
	v_sub_f32_e32 v164, v171, v169
	v_sub_f32_e32 v103, v103, v104
	v_fmac_f32_e32 v82, 0xbf737871, v107
	v_fmac_f32_e32 v102, 0xbf167918, v106
	v_add_f32_e32 v103, v164, v103
	v_fmac_f32_e32 v82, 0x3f167918, v106
	v_fmac_f32_e32 v102, 0x3e9e377a, v103
	;; [unrolled: 1-line block ×3, first 2 shown]
	v_add_u32_e32 v103, 0x600, v161
	v_lshl_add_u32 v164, v162, 3, v163
	ds_write2_b64 v103, v[85:86], v[87:88] offset0:12 offset1:216
	v_add_u32_e32 v85, 0x1200, v164
	v_add_f32_e32 v90, v90, v167
	v_add_f32_e32 v98, v98, v104
	ds_write2_b64 v85, v[77:78], v[83:84] offset0:36 offset1:240
	ds_write2_b64 v161, v[72:73], v[89:90] offset1:68
	ds_write_b64 v161, v[97:98] offset:1088
	ds_write2_b64 v74, v[93:94], v[99:100] offset0:16 offset1:84
	v_add_u32_e32 v72, 0xc00, v161
	ds_write2_b64 v72, v[95:96], v[101:102] offset0:92 offset1:160
	ds_write2_b64 v76, v[79:80], v[81:82] offset0:168 offset1:236
	;; [unrolled: 1-line block ×3, first 2 shown]
	v_add_co_u32_e32 v72, vcc, s4, v116
	v_addc_co_u32_e32 v73, vcc, 0, v105, vcc
	s_waitcnt lgkmcnt(0)
	s_barrier
	global_load_dwordx2 v[85:86], v[72:73], off offset:4064
	v_add_co_u32_e32 v72, vcc, s5, v116
	v_addc_co_u32_e32 v73, vcc, 0, v105, vcc
	global_load_dwordx2 v[87:88], v[72:73], off offset:4080
	global_load_dwordx2 v[89:90], v[72:73], off offset:544
	s_movk_i32 s4, 0x3000
	v_add_co_u32_e32 v77, vcc, s4, v116
	v_addc_co_u32_e32 v78, vcc, 0, v105, vcc
	global_load_dwordx2 v[91:92], v[77:78], off offset:496
	global_load_dwordx2 v[93:94], v[72:73], off offset:1088
	;; [unrolled: 1-line block ×11, first 2 shown]
	ds_read2_b64 v[77:80], v161 offset1:68
	ds_read2_b64 v[81:84], v74 offset0:152 offset1:254
	s_waitcnt vmcnt(13) lgkmcnt(1)
	v_mul_f32_e32 v107, v78, v86
	v_fma_f32 v191, v77, v85, -v107
	v_mul_f32_e32 v192, v77, v86
	v_fmac_f32_e32 v192, v78, v85
	s_waitcnt vmcnt(12) lgkmcnt(0)
	v_mul_f32_e32 v77, v84, v88
	v_fma_f32 v193, v83, v87, -v77
	v_mul_f32_e32 v194, v83, v88
	s_waitcnt vmcnt(11)
	v_mul_f32_e32 v77, v80, v90
	v_mul_f32_e32 v78, v79, v90
	v_fmac_f32_e32 v194, v84, v87
	v_fma_f32 v77, v79, v89, -v77
	ds_read2_b64 v[83:86], v76 offset0:66 offset1:134
	v_fmac_f32_e32 v78, v80, v89
	ds_write2_b64 v161, v[191:192], v[77:78] offset1:68
	ds_read2_b64 v[77:80], v161 offset0:136 offset1:204
	s_waitcnt vmcnt(10) lgkmcnt(2)
	v_mul_f32_e32 v87, v84, v92
	v_fma_f32 v87, v83, v91, -v87
	v_mul_f32_e32 v88, v83, v92
	s_waitcnt vmcnt(9) lgkmcnt(0)
	v_mul_f32_e32 v83, v78, v94
	v_mul_f32_e32 v90, v77, v94
	v_fma_f32 v89, v77, v93, -v83
	v_fmac_f32_e32 v90, v78, v93
	s_waitcnt vmcnt(8)
	v_mul_f32_e32 v77, v86, v96
	v_mul_f32_e32 v78, v85, v96
	v_fmac_f32_e32 v88, v84, v91
	v_fma_f32 v77, v85, v95, -v77
	v_fmac_f32_e32 v78, v86, v95
	ds_write2_b64 v76, v[87:88], v[77:78] offset0:66 offset1:134
	s_waitcnt vmcnt(7)
	v_mul_f32_e32 v77, v80, v98
	v_fma_f32 v78, v79, v97, -v77
	v_mul_f32_e32 v79, v79, v98
	v_add_u32_e32 v77, 0x1400, v161
	v_fmac_f32_e32 v79, v80, v97
	ds_read2_b64 v[83:86], v77 offset0:74 offset1:142
	ds_write2_b64 v161, v[89:90], v[78:79] offset0:136 offset1:204
	ds_read2_b64 v[87:90], v74 offset0:16 offset1:84
	s_waitcnt vmcnt(6) lgkmcnt(2)
	v_mul_f32_e32 v79, v83, v100
	v_mul_f32_e32 v78, v84, v100
	s_waitcnt vmcnt(5) lgkmcnt(0)
	v_mul_f32_e32 v80, v88, v102
	v_fmac_f32_e32 v79, v84, v99
	v_fma_f32 v91, v87, v101, -v80
	s_waitcnt vmcnt(4)
	v_mul_f32_e32 v80, v86, v104
	v_mul_f32_e32 v84, v85, v104
	v_fma_f32 v78, v83, v99, -v78
	v_fma_f32 v83, v85, v103, -v80
	v_fmac_f32_e32 v84, v86, v103
	ds_write2_b64 v77, v[78:79], v[83:84] offset0:74 offset1:142
	ds_read2_b64 v[83:86], v75 offset0:82 offset1:150
	s_waitcnt vmcnt(1)
	v_mul_f32_e32 v80, v82, v188
	v_mul_f32_e32 v92, v87, v102
	v_mul_f32_e32 v78, v90, v106
	v_mul_f32_e32 v79, v89, v106
	v_fma_f32 v80, v81, v187, -v80
	v_mul_f32_e32 v81, v81, v188
	v_fmac_f32_e32 v92, v88, v101
	v_fma_f32 v78, v89, v105, -v78
	v_fmac_f32_e32 v79, v90, v105
	v_fmac_f32_e32 v81, v82, v187
	ds_write2_b64 v74, v[91:92], v[78:79] offset0:16 offset1:84
	s_waitcnt lgkmcnt(1)
	v_mul_f32_e32 v78, v84, v186
	v_mul_f32_e32 v79, v83, v186
	ds_write2_b64 v74, v[80:81], v[193:194] offset0:152 offset1:254
	s_waitcnt vmcnt(0)
	v_mul_f32_e32 v80, v86, v190
	v_mul_f32_e32 v81, v85, v190
	v_fma_f32 v78, v83, v185, -v78
	v_fmac_f32_e32 v79, v84, v185
	v_fma_f32 v80, v85, v189, -v80
	v_fmac_f32_e32 v81, v86, v189
	ds_write2_b64 v75, v[78:79], v[80:81] offset0:82 offset1:150
	s_and_saveexec_b64 s[4:5], s[0:1]
	s_cbranch_execz .LBB0_17
; %bb.16:
	global_load_dwordx2 v[78:79], v[72:73], off offset:3808
	v_add_co_u32_e32 v72, vcc, 0x1000, v72
	v_addc_co_u32_e32 v73, vcc, 0, v73, vcc
	global_load_dwordx2 v[72:73], v[72:73], off offset:3792
	ds_read_b64 v[80:81], v161 offset:3808
	ds_read_b64 v[82:83], v161 offset:7888
	s_waitcnt vmcnt(1) lgkmcnt(1)
	v_mul_f32_e32 v84, v81, v79
	v_mul_f32_e32 v85, v80, v79
	v_fma_f32 v84, v80, v78, -v84
	v_fmac_f32_e32 v85, v81, v78
	ds_write_b64 v161, v[84:85] offset:3808
	s_waitcnt vmcnt(0) lgkmcnt(1)
	v_mul_f32_e32 v78, v83, v73
	v_mul_f32_e32 v79, v82, v73
	v_fma_f32 v78, v82, v72, -v78
	v_fmac_f32_e32 v79, v83, v72
	ds_write_b64 v161, v[78:79] offset:7888
.LBB0_17:
	s_or_b64 exec, exec, s[4:5]
	s_waitcnt lgkmcnt(0)
	s_barrier
	ds_read2_b64 v[78:81], v161 offset1:68
	ds_read2_b64 v[96:99], v74 offset0:152 offset1:254
	ds_read2_b64 v[82:85], v76 offset0:66 offset1:134
	;; [unrolled: 1-line block ×6, first 2 shown]
	s_and_saveexec_b64 s[4:5], s[0:1]
	s_cbranch_execz .LBB0_19
; %bb.18:
	ds_read_b64 v[159:160], v161 offset:3808
	ds_read_b64 v[157:158], v161 offset:7888
.LBB0_19:
	s_or_b64 exec, exec, s[4:5]
	s_waitcnt lgkmcnt(5)
	v_sub_f32_e32 v74, v78, v98
	v_sub_f32_e32 v75, v79, v99
	v_fma_f32 v72, v78, 2.0, -v74
	v_fma_f32 v73, v79, 2.0, -v75
	s_waitcnt lgkmcnt(4)
	v_sub_f32_e32 v78, v80, v82
	v_sub_f32_e32 v79, v81, v83
	s_waitcnt lgkmcnt(3)
	v_sub_f32_e32 v82, v86, v84
	v_sub_f32_e32 v83, v87, v85
	;; [unrolled: 3-line block ×3, first 2 shown]
	v_fma_f32 v76, v80, 2.0, -v78
	v_fma_f32 v77, v81, 2.0, -v79
	;; [unrolled: 1-line block ×4, first 2 shown]
	v_sub_f32_e32 v86, v88, v90
	v_sub_f32_e32 v87, v89, v91
	;; [unrolled: 1-line block ×4, first 2 shown]
	v_fma_f32 v92, v102, 2.0, -v94
	v_fma_f32 v93, v103, 2.0, -v95
	v_sub_f32_e32 v98, v96, v106
	v_sub_f32_e32 v99, v97, v107
	;; [unrolled: 1-line block ×4, first 2 shown]
	v_fma_f32 v84, v88, 2.0, -v86
	v_fma_f32 v85, v89, 2.0, -v87
	;; [unrolled: 1-line block ×8, first 2 shown]
	s_barrier
	ds_write_b128 v134, v[72:75]
	ds_write_b128 v135, v[76:79]
	;; [unrolled: 1-line block ×7, first 2 shown]
	s_and_saveexec_b64 s[4:5], s[0:1]
	s_cbranch_execz .LBB0_21
; %bb.20:
	ds_write_b128 v136, v[100:103]
.LBB0_21:
	s_or_b64 exec, exec, s[4:5]
	s_waitcnt lgkmcnt(0)
	s_barrier
	s_and_saveexec_b64 s[4:5], s[2:3]
	s_cbranch_execz .LBB0_23
; %bb.22:
	v_add_u32_e32 v80, 0x400, v161
	v_add_u32_e32 v84, 0x800, v161
	;; [unrolled: 1-line block ×6, first 2 shown]
	ds_read2_b64 v[72:75], v161 offset1:60
	ds_read2_b64 v[76:79], v161 offset0:120 offset1:180
	ds_read2_b64 v[80:83], v80 offset0:112 offset1:172
	;; [unrolled: 1-line block ×7, first 2 shown]
	ds_read_b64 v[155:156], v161 offset:7680
.LBB0_23:
	s_or_b64 exec, exec, s[4:5]
	s_waitcnt lgkmcnt(8)
	v_mul_f32_e32 v104, v25, v75
	v_mul_f32_e32 v25, v25, v74
	v_fmac_f32_e32 v104, v24, v74
	v_fma_f32 v74, v24, v75, -v25
	s_waitcnt lgkmcnt(7)
	v_mul_f32_e32 v25, v27, v76
	v_mul_f32_e32 v24, v27, v77
	v_fma_f32 v75, v26, v77, -v25
	v_mul_f32_e32 v25, v17, v79
	v_mul_f32_e32 v17, v17, v78
	v_fmac_f32_e32 v24, v26, v76
	v_fmac_f32_e32 v25, v16, v78
	v_fma_f32 v77, v16, v79, -v17
	s_waitcnt lgkmcnt(6)
	v_mul_f32_e32 v26, v19, v81
	v_mul_f32_e32 v16, v19, v80
	;; [unrolled: 1-line block ×4, first 2 shown]
	v_fma_f32 v79, v18, v81, -v16
	v_fmac_f32_e32 v19, v8, v82
	v_fma_f32 v81, v8, v83, -v9
	s_waitcnt lgkmcnt(5)
	v_mul_f32_e32 v8, v11, v84
	v_mul_f32_e32 v76, v1, v87
	;; [unrolled: 1-line block ×4, first 2 shown]
	v_fma_f32 v83, v10, v85, -v8
	v_fmac_f32_e32 v76, v0, v86
	v_fma_f32 v85, v0, v87, -v1
	s_waitcnt lgkmcnt(4)
	v_mul_f32_e32 v0, v3, v88
	v_fma_f32 v87, v2, v89, -v0
	v_mul_f32_e32 v0, v29, v90
	v_mul_f32_e32 v78, v3, v89
	v_fma_f32 v89, v28, v91, -v0
	s_waitcnt lgkmcnt(3)
	v_mul_f32_e32 v0, v31, v92
	v_fmac_f32_e32 v26, v18, v80
	v_fmac_f32_e32 v27, v10, v84
	v_mul_f32_e32 v80, v29, v91
	v_fma_f32 v91, v30, v93, -v0
	v_mul_f32_e32 v84, v21, v95
	v_mul_f32_e32 v0, v21, v94
	v_fmac_f32_e32 v84, v20, v94
	v_fma_f32 v94, v20, v95, -v0
	s_waitcnt lgkmcnt(2)
	v_mul_f32_e32 v86, v23, v97
	v_mul_f32_e32 v0, v23, v96
	v_fmac_f32_e32 v86, v22, v96
	v_fma_f32 v96, v22, v97, -v0
	v_mul_f32_e32 v0, v13, v98
	v_fmac_f32_e32 v78, v2, v88
	v_mul_f32_e32 v88, v13, v99
	v_fma_f32 v97, v12, v99, -v0
	s_waitcnt lgkmcnt(1)
	v_mul_f32_e32 v0, v15, v100
	v_fmac_f32_e32 v88, v12, v98
	v_fma_f32 v98, v14, v101, -v0
	v_mul_f32_e32 v0, v5, v102
	v_fmac_f32_e32 v80, v28, v90
	v_mul_f32_e32 v90, v15, v101
	v_fma_f32 v99, v4, v103, -v0
	s_waitcnt lgkmcnt(0)
	v_mul_f32_e32 v0, v7, v155
	v_mul_f32_e32 v82, v31, v93
	v_fmac_f32_e32 v90, v14, v100
	v_mul_f32_e32 v95, v7, v156
	v_fma_f32 v100, v6, v156, -v0
	v_fmac_f32_e32 v82, v30, v92
	v_mul_f32_e32 v92, v5, v103
	v_fmac_f32_e32 v95, v6, v155
	v_sub_f32_e32 v101, v74, v100
	v_fmac_f32_e32 v92, v4, v102
	v_add_f32_e32 v8, v95, v104
	v_add_f32_e32 v103, v100, v74
	s_mov_b32 s6, 0x3f3d2fb0
	v_mul_f32_e32 v155, 0xbf2c7751, v101
	v_sub_f32_e32 v102, v75, v99
	v_mul_f32_e32 v158, 0x3f3d2fb0, v103
	v_fma_f32 v0, v8, s6, -v155
	v_add_f32_e32 v9, v92, v24
	v_add_f32_e32 v106, v99, v75
	s_mov_b32 s14, 0x3dbcf732
	v_mul_f32_e32 v159, 0xbf7ee86f, v102
	v_sub_f32_e32 v10, v104, v95
	v_add_f32_e32 v0, v72, v0
	v_mov_b32_e32 v1, v158
	v_mul_f32_e32 v166, 0x3dbcf732, v106
	v_fma_f32 v4, v9, s14, -v159
	v_fmac_f32_e32 v1, 0xbf2c7751, v10
	s_mov_b32 s7, 0x3ee437d1
	v_mul_f32_e32 v168, 0xbf65296c, v101
	v_sub_f32_e32 v12, v24, v92
	v_add_f32_e32 v0, v4, v0
	v_mov_b32_e32 v4, v166
	v_add_f32_e32 v1, v73, v1
	v_mul_f32_e32 v186, 0x3ee437d1, v103
	v_fma_f32 v2, v8, s7, -v168
	v_fmac_f32_e32 v4, 0xbf7ee86f, v12
	s_mov_b32 s15, 0xbf1a4643
	v_mul_f32_e32 v244, 0xbf4c4adb, v102
	v_add_f32_e32 v2, v72, v2
	v_mov_b32_e32 v3, v186
	v_add_f32_e32 v1, v4, v1
	v_mul_f32_e32 v192, 0xbf1a4643, v106
	v_fma_f32 v4, v9, s15, -v244
	v_fmac_f32_e32 v3, 0xbf65296c, v10
	v_add_f32_e32 v2, v4, v2
	v_mov_b32_e32 v4, v192
	v_sub_f32_e32 v105, v77, v98
	v_add_f32_e32 v3, v73, v3
	v_fmac_f32_e32 v4, 0xbf4c4adb, v12
	v_add_f32_e32 v11, v90, v25
	v_add_f32_e32 v156, v98, v77
	v_mul_f32_e32 v167, 0xbf4c4adb, v105
	v_add_f32_e32 v3, v4, v3
	v_mul_f32_e32 v246, 0xbf1a4643, v156
	v_fma_f32 v4, v11, s15, -v167
	v_sub_f32_e32 v14, v25, v90
	v_add_f32_e32 v0, v4, v0
	v_mov_b32_e32 v4, v246
	v_fmac_f32_e32 v4, 0xbf4c4adb, v14
	s_mov_b32 s16, 0xbf7ba420
	v_mul_f32_e32 v193, 0x3e3c28d5, v105
	v_add_f32_e32 v1, v4, v1
	v_mul_f32_e32 v197, 0xbf7ba420, v156
	v_fma_f32 v4, v11, s16, -v193
	v_add_f32_e32 v2, v4, v2
	v_mov_b32_e32 v4, v197
	v_sub_f32_e32 v107, v79, v97
	v_fmac_f32_e32 v4, 0x3e3c28d5, v14
	v_add_f32_e32 v13, v88, v26
	v_add_f32_e32 v160, v97, v79
	v_mul_f32_e32 v243, 0xbe3c28d5, v107
	v_add_f32_e32 v3, v4, v3
	v_mul_f32_e32 v248, 0xbf7ba420, v160
	v_fma_f32 v4, v13, s16, -v243
	v_sub_f32_e32 v16, v26, v88
	v_add_f32_e32 v0, v4, v0
	v_mov_b32_e32 v4, v248
	v_fmac_f32_e32 v4, 0xbe3c28d5, v16
	s_mov_b32 s17, 0xbe8c1d8e
	v_mul_f32_e32 v198, 0x3f763a35, v107
	v_add_f32_e32 v1, v4, v1
	v_mul_f32_e32 v201, 0xbe8c1d8e, v160
	v_fma_f32 v4, v13, s17, -v198
	v_add_f32_e32 v2, v4, v2
	v_mov_b32_e32 v4, v201
	v_sub_f32_e32 v157, v81, v96
	v_fmac_f32_e32 v4, 0x3f763a35, v16
	v_add_f32_e32 v15, v86, v19
	v_add_f32_e32 v169, v96, v81
	s_mov_b32 s18, 0xbf59a7d5
	v_mul_f32_e32 v190, 0x3f06c442, v157
	v_add_f32_e32 v3, v4, v3
	v_mul_f32_e32 v196, 0xbf59a7d5, v169
	v_fma_f32 v4, v15, s18, -v190
	v_sub_f32_e32 v18, v19, v86
	v_add_f32_e32 v0, v4, v0
	v_mov_b32_e32 v4, v196
	v_fmac_f32_e32 v4, 0x3f06c442, v18
	v_mul_f32_e32 v202, 0x3f2c7751, v157
	v_add_f32_e32 v1, v4, v1
	v_mul_f32_e32 v205, 0x3f3d2fb0, v169
	v_fma_f32 v4, v15, s6, -v202
	v_add_f32_e32 v2, v4, v2
	v_mov_b32_e32 v4, v205
	v_sub_f32_e32 v165, v83, v94
	v_fmac_f32_e32 v4, 0x3f2c7751, v18
	v_add_f32_e32 v17, v84, v27
	v_add_f32_e32 v187, v94, v83
	v_mul_f32_e32 v194, 0x3f763a35, v165
	v_add_f32_e32 v3, v4, v3
	v_mul_f32_e32 v199, 0xbe8c1d8e, v187
	v_fma_f32 v4, v17, s17, -v194
	v_sub_f32_e32 v21, v27, v84
	v_add_f32_e32 v0, v4, v0
	v_mov_b32_e32 v4, v199
	v_fmac_f32_e32 v4, 0x3f763a35, v21
	s_mov_b32 s19, 0x3f6eb680
	v_mul_f32_e32 v206, 0xbeb8f4ab, v165
	v_add_f32_e32 v1, v4, v1
	v_mul_f32_e32 v209, 0x3f6eb680, v187
	v_fma_f32 v4, v17, s19, -v206
	v_add_f32_e32 v2, v4, v2
	v_mov_b32_e32 v4, v209
	v_sub_f32_e32 v170, v85, v91
	v_fmac_f32_e32 v4, 0xbeb8f4ab, v21
	v_add_f32_e32 v20, v82, v76
	v_add_f32_e32 v191, v91, v85
	v_mul_f32_e32 v200, 0x3f65296c, v170
	v_add_f32_e32 v3, v4, v3
	v_mul_f32_e32 v204, 0x3ee437d1, v191
	v_fma_f32 v4, v20, s7, -v200
	v_sub_f32_e32 v23, v76, v82
	v_add_f32_e32 v0, v4, v0
	v_mov_b32_e32 v4, v204
	v_fmac_f32_e32 v4, 0x3f65296c, v23
	v_mul_f32_e32 v208, 0xbf7ee86f, v170
	v_add_f32_e32 v1, v4, v1
	v_mul_f32_e32 v211, 0x3dbcf732, v191
	v_fma_f32 v4, v20, s14, -v208
	v_add_f32_e32 v2, v4, v2
	v_mov_b32_e32 v4, v211
	v_sub_f32_e32 v185, v87, v89
	v_fmac_f32_e32 v4, 0xbf7ee86f, v23
	v_add_f32_e32 v22, v80, v78
	v_add_f32_e32 v195, v89, v87
	v_mul_f32_e32 v203, 0x3eb8f4ab, v185
	v_add_f32_e32 v3, v4, v3
	v_mul_f32_e32 v207, 0x3f6eb680, v195
	v_fma_f32 v4, v22, s19, -v203
	v_sub_f32_e32 v93, v78, v80
	v_add_f32_e32 v28, v4, v0
	v_mov_b32_e32 v0, v207
	v_fmac_f32_e32 v0, 0x3eb8f4ab, v93
	v_mul_f32_e32 v210, 0xbf06c442, v185
	v_add_f32_e32 v29, v0, v1
	v_mul_f32_e32 v212, 0xbf59a7d5, v195
	v_fma_f32 v0, v22, s18, -v210
	v_add_f32_e32 v30, v0, v2
	v_mov_b32_e32 v0, v212
	v_fmac_f32_e32 v0, 0xbf06c442, v93
	v_add_f32_e32 v31, v0, v3
	s_barrier
	s_and_saveexec_b64 s[4:5], s[2:3]
	s_cbranch_execz .LBB0_25
; %bb.24:
	v_mul_f32_e32 v215, 0xbf763a35, v10
	v_mov_b32_e32 v0, v215
	v_mul_f32_e32 v216, 0x3f06c442, v12
	v_fmac_f32_e32 v0, 0xbe8c1d8e, v103
	v_mov_b32_e32 v1, v216
	v_add_f32_e32 v0, v73, v0
	v_fmac_f32_e32 v1, 0xbf59a7d5, v106
	v_mul_f32_e32 v217, 0x3f2c7751, v14
	v_add_f32_e32 v0, v1, v0
	v_mov_b32_e32 v1, v217
	v_fmac_f32_e32 v1, 0x3f3d2fb0, v156
	v_mul_f32_e32 v218, 0xbf65296c, v16
	v_add_f32_e32 v0, v1, v0
	v_mov_b32_e32 v1, v218
	;; [unrolled: 4-line block ×6, first 2 shown]
	v_fmac_f32_e32 v1, 0xbf1a4643, v195
	v_mul_f32_e32 v254, 0xbf763a35, v101
	v_add_f32_e32 v239, v1, v0
	v_fma_f32 v0, v8, s17, -v254
	v_mul_f32_e32 v255, 0x3f06c442, v102
	v_add_f32_e32 v0, v72, v0
	v_fma_f32 v2, v9, s18, -v255
	buffer_store_dword v174, off, s[28:31], 0 offset:28 ; 4-byte Folded Spill
	v_mul_f32_e32 v174, 0x3f2c7751, v105
	v_add_f32_e32 v0, v2, v0
	v_fma_f32 v2, v11, s6, -v174
	buffer_store_dword v173, off, s[28:31], 0 offset:24 ; 4-byte Folded Spill
	;; [unrolled: 4-line block ×6, first 2 shown]
	v_mul_f32_e32 v178, 0xbf4c4adb, v185
	v_add_f32_e32 v0, v2, v0
	v_fma_f32 v2, v22, s15, -v178
	v_mul_f32_e32 v6, 0xbf06c442, v10
	v_add_f32_e32 v238, v2, v0
	v_mov_b32_e32 v2, v6
	v_mul_f32_e32 v7, 0x3f65296c, v12
	v_fmac_f32_e32 v2, 0xbf59a7d5, v103
	v_mov_b32_e32 v3, v7
	v_add_f32_e32 v2, v73, v2
	v_fmac_f32_e32 v3, 0x3ee437d1, v106
	v_mul_f32_e32 v213, 0xbf7ee86f, v14
	v_add_f32_e32 v2, v3, v2
	v_mov_b32_e32 v3, v213
	v_fmac_f32_e32 v3, 0x3dbcf732, v156
	v_mul_f32_e32 v214, 0x3f4c4adb, v16
	v_add_f32_e32 v2, v3, v2
	v_mov_b32_e32 v3, v214
	v_fmac_f32_e32 v3, 0xbf1a4643, v160
	buffer_store_dword v179, off, s[28:31], 0 offset:48 ; 4-byte Folded Spill
	v_mul_f32_e32 v179, 0xbeb8f4ab, v18
	v_add_f32_e32 v2, v3, v2
	v_mov_b32_e32 v3, v179
	v_fmac_f32_e32 v3, 0x3f6eb680, v169
	buffer_store_dword v180, off, s[28:31], 0 offset:52 ; 4-byte Folded Spill
	v_mul_f32_e32 v180, 0xbe3c28d5, v21
	v_add_f32_e32 v2, v3, v2
	v_mov_b32_e32 v3, v180
	v_fmac_f32_e32 v3, 0xbf7ba420, v187
	v_mul_f32_e32 v184, 0x3f2c7751, v23
	v_add_f32_e32 v2, v3, v2
	v_mov_b32_e32 v3, v184
	v_fmac_f32_e32 v3, 0x3f3d2fb0, v191
	buffer_store_dword v181, off, s[28:31], 0 offset:56 ; 4-byte Folded Spill
	v_mul_f32_e32 v181, 0xbf763a35, v93
	v_add_f32_e32 v2, v3, v2
	v_mov_b32_e32 v3, v181
	v_fmac_f32_e32 v3, 0xbe8c1d8e, v195
	buffer_store_dword v182, off, s[28:31], 0 offset:60 ; 4-byte Folded Spill
	v_mul_f32_e32 v182, 0xbf06c442, v101
	v_add_f32_e32 v237, v3, v2
	v_fma_f32 v2, v8, s18, -v182
	buffer_store_dword v183, off, s[28:31], 0 offset:64 ; 4-byte Folded Spill
	v_mul_f32_e32 v183, 0x3f65296c, v102
	v_add_f32_e32 v2, v72, v2
	v_fma_f32 v4, v9, s7, -v183
	v_mul_f32_e32 v0, 0xbf7ee86f, v105
	v_mov_b32_e32 v224, v111
	v_add_f32_e32 v2, v4, v2
	v_fma_f32 v1, v11, s14, -v0
	v_mov_b32_e32 v223, v110
	v_mul_f32_e32 v110, 0x3f4c4adb, v107
	v_add_f32_e32 v1, v1, v2
	v_fma_f32 v2, v13, s15, -v110
	v_mul_f32_e32 v111, 0xbeb8f4ab, v157
	v_mov_b32_e32 v226, v113
	v_add_f32_e32 v1, v2, v1
	v_fma_f32 v2, v15, s19, -v111
	v_mov_b32_e32 v225, v112
	;; [unrolled: 8-line block ×3, first 2 shown]
	v_mul_f32_e32 v114, 0xbf763a35, v185
	v_add_f32_e32 v1, v2, v1
	v_fma_f32 v2, v22, s17, -v114
	v_add_f32_e32 v236, v2, v1
	v_mul_f32_e32 v1, 0xbf7ba420, v103
	v_mov_b32_e32 v4, v1
	v_mul_f32_e32 v115, 0x3f6eb680, v106
	v_fmac_f32_e32 v4, 0x3e3c28d5, v10
	v_mov_b32_e32 v5, v115
	v_mov_b32_e32 v220, v117
	v_add_f32_e32 v4, v73, v4
	v_fmac_f32_e32 v5, 0xbeb8f4ab, v12
	v_mov_b32_e32 v219, v116
	v_mul_f32_e32 v116, 0xbf59a7d5, v156
	v_add_f32_e32 v4, v5, v4
	v_mov_b32_e32 v5, v116
	v_fmac_f32_e32 v5, 0x3f06c442, v14
	v_mul_f32_e32 v117, 0x3f3d2fb0, v160
	v_add_f32_e32 v4, v5, v4
	v_mov_b32_e32 v5, v117
	v_mov_b32_e32 v172, v119
	v_fmac_f32_e32 v5, 0xbf2c7751, v16
	v_mov_b32_e32 v171, v118
	v_mul_f32_e32 v118, 0xbf1a4643, v169
	v_add_f32_e32 v4, v5, v4
	v_mov_b32_e32 v5, v118
	v_mov_b32_e32 v228, v109
	v_fmac_f32_e32 v5, 0x3f4c4adb, v18
	v_mul_f32_e32 v119, 0x3ee437d1, v187
	v_mov_b32_e32 v227, v108
	v_add_f32_e32 v4, v5, v4
	v_mov_b32_e32 v5, v119
	v_mov_b32_e32 v108, v120
	v_fmac_f32_e32 v5, 0xbf65296c, v21
	v_mov_b32_e32 v109, v121
	v_mul_f32_e32 v120, 0xbe8c1d8e, v191
	v_add_f32_e32 v4, v5, v4
	v_mov_b32_e32 v5, v120
	v_fmac_f32_e32 v5, 0x3f763a35, v23
	v_mul_f32_e32 v121, 0x3dbcf732, v195
	v_add_f32_e32 v4, v5, v4
	v_mov_b32_e32 v5, v121
	v_mul_f32_e32 v234, 0xbe3c28d5, v101
	v_fmac_f32_e32 v5, 0xbf7ee86f, v93
	v_mov_b32_e32 v3, v234
	v_mul_f32_e32 v2, 0x3eb8f4ab, v102
	v_add_f32_e32 v241, v5, v4
	v_fmac_f32_e32 v3, 0xbf7ba420, v8
	v_mov_b32_e32 v4, v2
	v_add_f32_e32 v3, v72, v3
	v_fmac_f32_e32 v4, 0x3f6eb680, v9
	v_mul_f32_e32 v232, 0xbf06c442, v105
	v_add_f32_e32 v3, v4, v3
	v_mov_b32_e32 v4, v232
	v_fmac_f32_e32 v4, 0xbf59a7d5, v11
	v_mul_f32_e32 v231, 0x3f2c7751, v107
	v_add_f32_e32 v3, v4, v3
	v_mov_b32_e32 v4, v231
	;; [unrolled: 4-line block ×3, first 2 shown]
	v_fmac_f32_e32 v4, 0xbf1a4643, v15
	v_mul_f32_e32 v233, 0x3f65296c, v165
	v_mov_b32_e32 v189, v127
	v_add_f32_e32 v3, v4, v3
	v_mov_b32_e32 v4, v233
	v_mov_b32_e32 v188, v126
	;; [unrolled: 1-line block ×3, first 2 shown]
	v_fmac_f32_e32 v4, 0x3ee437d1, v17
	v_mul_f32_e32 v229, 0xbf763a35, v170
	v_mov_b32_e32 v126, v124
	v_mov_b32_e32 v125, v123
	v_add_f32_e32 v3, v4, v3
	v_mov_b32_e32 v4, v229
	v_mov_b32_e32 v124, v122
	;; [unrolled: 1-line block ×3, first 2 shown]
	v_fmac_f32_e32 v4, 0xbe8c1d8e, v20
	v_mov_b32_e32 v123, v130
	v_mul_f32_e32 v129, 0x3f7ee86f, v185
	v_add_f32_e32 v3, v4, v3
	v_mov_b32_e32 v4, v129
	v_fmac_f32_e32 v4, 0x3dbcf732, v22
	v_add_f32_e32 v240, v4, v3
	v_fma_f32 v3, v103, s18, -v6
	v_add_f32_e32 v3, v73, v3
	v_fma_f32 v6, v106, s7, -v7
	;; [unrolled: 2-line block ×8, first 2 shown]
	v_fmac_f32_e32 v182, 0xbf59a7d5, v8
	v_add_f32_e32 v7, v6, v3
	v_add_f32_e32 v3, v72, v182
	v_fmac_f32_e32 v183, 0x3ee437d1, v9
	v_add_f32_e32 v3, v183, v3
	v_fmac_f32_e32 v0, 0x3dbcf732, v11
	;; [unrolled: 2-line block ×7, first 2 shown]
	v_add_f32_e32 v6, v114, v0
	v_mul_f32_e32 v0, 0xbf1a4643, v103
	v_mov_b32_e32 v3, v0
	v_mul_f32_e32 v110, 0xbe8c1d8e, v106
	v_fmac_f32_e32 v3, 0x3f4c4adb, v10
	v_mov_b32_e32 v111, v110
	v_add_f32_e32 v3, v73, v3
	v_fmac_f32_e32 v111, 0xbf763a35, v12
	v_add_f32_e32 v3, v111, v3
	v_mul_f32_e32 v111, 0x3f6eb680, v156
	v_mov_b32_e32 v112, v111
	v_fmac_f32_e32 v112, 0x3eb8f4ab, v14
	v_add_f32_e32 v3, v112, v3
	v_mul_f32_e32 v112, 0xbf59a7d5, v160
	v_mov_b32_e32 v113, v112
	;; [unrolled: 4-line block ×6, first 2 shown]
	v_fmac_f32_e32 v180, 0xbf65296c, v93
	v_mul_f32_e32 v5, 0xbf4c4adb, v101
	v_add_f32_e32 v214, v180, v3
	v_mov_b32_e32 v180, v5
	v_mul_f32_e32 v181, 0x3f763a35, v102
	v_fmac_f32_e32 v180, 0xbf1a4643, v8
	v_mov_b32_e32 v182, v181
	v_add_f32_e32 v180, v72, v180
	v_fmac_f32_e32 v182, 0xbe8c1d8e, v9
	v_add_f32_e32 v180, v182, v180
	v_mul_f32_e32 v182, 0xbeb8f4ab, v105
	v_mov_b32_e32 v183, v182
	v_fmac_f32_e32 v183, 0x3f6eb680, v11
	v_add_f32_e32 v180, v183, v180
	v_mul_f32_e32 v183, 0xbf06c442, v107
	v_mov_b32_e32 v184, v183
	;; [unrolled: 4-line block ×3, first 2 shown]
	v_mov_b32_e32 v213, v184
	v_mov_b32_e32 v4, v132
	v_mul_f32_e32 v131, 0xbf2c7751, v165
	v_fmac_f32_e32 v213, 0x3dbcf732, v15
	v_mov_b32_e32 v132, v131
	v_add_f32_e32 v180, v213, v180
	v_fmac_f32_e32 v132, 0x3f3d2fb0, v17
	v_add_f32_e32 v132, v132, v180
	v_mul_f32_e32 v180, 0xbe3c28d5, v170
	v_mov_b32_e32 v213, v180
	v_mul_f32_e32 v133, 0x3f65296c, v185
	v_fmac_f32_e32 v213, 0xbf7ba420, v20
	v_mov_b32_e32 v134, v133
	v_add_f32_e32 v132, v213, v132
	v_fmac_f32_e32 v134, 0x3ee437d1, v22
	v_add_f32_e32 v213, v134, v132
	v_fma_f32 v132, v103, s17, -v215
	v_add_f32_e32 v132, v73, v132
	v_fma_f32 v134, v106, s18, -v216
	;; [unrolled: 2-line block ×8, first 2 shown]
	v_fmac_f32_e32 v254, 0xbe8c1d8e, v8
	v_add_f32_e32 v216, v134, v132
	v_add_f32_e32 v132, v72, v254
	v_fmac_f32_e32 v255, 0xbf59a7d5, v9
	v_add_f32_e32 v132, v255, v132
	v_fmac_f32_e32 v174, 0x3f3d2fb0, v11
	;; [unrolled: 2-line block ×7, first 2 shown]
	v_add_f32_e32 v215, v178, v132
	v_mul_f32_e32 v132, 0x3dbcf732, v103
	v_mov_b32_e32 v134, v132
	v_mul_f32_e32 v173, 0xbf7ba420, v106
	v_fmac_f32_e32 v134, 0x3f7ee86f, v10
	v_mov_b32_e32 v174, v173
	v_add_f32_e32 v134, v73, v134
	v_fmac_f32_e32 v174, 0x3e3c28d5, v12
	v_add_f32_e32 v134, v174, v134
	v_mul_f32_e32 v174, 0xbe8c1d8e, v156
	v_mov_b32_e32 v175, v174
	v_fmac_f32_e32 v175, 0xbf763a35, v14
	v_add_f32_e32 v134, v175, v134
	v_mul_f32_e32 v175, 0x3f6eb680, v160
	v_mov_b32_e32 v176, v175
	;; [unrolled: 4-line block ×5, first 2 shown]
	v_fmac_f32_e32 v217, 0xbf4c4adb, v23
	v_mul_f32_e32 v250, 0x3f3d2fb0, v195
	v_add_f32_e32 v134, v217, v134
	v_mov_b32_e32 v217, v250
	v_add_f32_e32 v74, v74, v73
	v_fmac_f32_e32 v217, 0xbf2c7751, v93
	v_add_f32_e32 v74, v75, v74
	v_add_f32_e32 v218, v217, v134
	v_mul_f32_e32 v134, 0xbf7ee86f, v101
	v_add_f32_e32 v74, v77, v74
	v_mov_b32_e32 v217, v134
	v_mul_f32_e32 v251, 0xbe3c28d5, v102
	v_add_f32_e32 v74, v79, v74
	v_fmac_f32_e32 v217, 0x3dbcf732, v8
	v_mov_b32_e32 v252, v251
	v_add_f32_e32 v74, v81, v74
	v_add_f32_e32 v217, v72, v217
	v_fmac_f32_e32 v252, 0xbf7ba420, v9
	v_add_f32_e32 v74, v83, v74
	v_add_f32_e32 v217, v252, v217
	v_mul_f32_e32 v252, 0x3f763a35, v105
	v_add_f32_e32 v74, v85, v74
	v_mov_b32_e32 v253, v252
	v_add_f32_e32 v74, v87, v74
	v_fmac_f32_e32 v253, 0xbe8c1d8e, v11
	v_add_f32_e32 v74, v89, v74
	v_add_f32_e32 v217, v253, v217
	v_mul_f32_e32 v253, 0x3eb8f4ab, v107
	v_add_f32_e32 v74, v91, v74
	v_fmac_f32_e32 v1, 0xbe3c28d5, v10
	v_mov_b32_e32 v254, v253
	v_add_f32_e32 v74, v94, v74
	v_add_f32_e32 v1, v73, v1
	v_fmac_f32_e32 v115, 0x3eb8f4ab, v12
	v_fmac_f32_e32 v254, 0x3f6eb680, v13
	v_add_f32_e32 v74, v96, v74
	v_add_f32_e32 v1, v115, v1
	v_fmac_f32_e32 v116, 0xbf06c442, v14
	v_add_f32_e32 v217, v254, v217
	v_mul_f32_e32 v254, 0xbf65296c, v157
	v_add_f32_e32 v74, v97, v74
	v_add_f32_e32 v1, v116, v1
	v_fmac_f32_e32 v117, 0x3f2c7751, v16
	v_mov_b32_e32 v255, v254
	v_add_f32_e32 v74, v98, v74
	v_add_f32_e32 v1, v117, v1
	v_fmac_f32_e32 v118, 0xbf4c4adb, v18
	v_fmac_f32_e32 v255, 0x3ee437d1, v15
	v_mul_f32_e32 v135, 0xbf06c442, v165
	v_add_f32_e32 v74, v99, v74
	v_add_f32_e32 v1, v118, v1
	v_fmac_f32_e32 v119, 0x3f65296c, v21
	v_add_f32_e32 v217, v255, v217
	v_mov_b32_e32 v255, v135
	v_add_f32_e32 v75, v100, v74
	v_add_f32_e32 v74, v72, v104
	;; [unrolled: 1-line block ×3, first 2 shown]
	v_fmac_f32_e32 v120, 0xbf763a35, v23
	v_fmac_f32_e32 v255, 0xbf59a7d5, v17
	v_add_f32_e32 v24, v24, v74
	v_add_f32_e32 v1, v120, v1
	v_fmac_f32_e32 v121, 0x3f7ee86f, v93
	v_fmac_f32_e32 v0, 0xbf4c4adb, v10
	v_add_f32_e32 v136, v255, v217
	v_mul_f32_e32 v255, 0x3f4c4adb, v170
	v_add_f32_e32 v24, v25, v24
	v_add_f32_e32 v25, v121, v1
	v_fma_f32 v1, v8, s16, -v234
	v_add_f32_e32 v0, v73, v0
	v_fmac_f32_e32 v110, 0x3f763a35, v12
	v_mov_b32_e32 v217, v255
	v_mul_f32_e32 v137, 0x3f2c7751, v185
	v_add_f32_e32 v1, v72, v1
	v_fma_f32 v2, v9, s19, -v2
	v_add_f32_e32 v0, v110, v0
	v_fmac_f32_e32 v111, 0xbeb8f4ab, v14
	v_fmac_f32_e32 v217, 0xbf1a4643, v20
	v_mov_b32_e32 v138, v137
	v_add_f32_e32 v1, v2, v1
	v_fma_f32 v2, v11, s18, -v232
	v_add_f32_e32 v0, v111, v0
	v_fmac_f32_e32 v112, 0xbf06c442, v16
	v_add_f32_e32 v136, v217, v136
	v_fmac_f32_e32 v138, 0x3f3d2fb0, v22
	v_add_f32_e32 v1, v2, v1
	v_fma_f32 v2, v13, s6, -v231
	v_add_f32_e32 v0, v112, v0
	v_fmac_f32_e32 v113, 0x3f7ee86f, v18
	v_add_f32_e32 v217, v138, v136
	v_mul_f32_e32 v136, 0xbf65296c, v10
	v_add_f32_e32 v1, v2, v1
	v_fma_f32 v2, v15, s15, -v230
	v_add_f32_e32 v0, v113, v0
	v_fmac_f32_e32 v114, 0xbf2c7751, v21
	v_sub_f32_e32 v136, v186, v136
	v_mul_f32_e32 v138, 0xbf4c4adb, v12
	v_add_f32_e32 v24, v26, v24
	v_add_f32_e32 v1, v2, v1
	v_fma_f32 v2, v17, s7, -v233
	v_add_f32_e32 v0, v114, v0
	v_fmac_f32_e32 v130, 0xbe3c28d5, v23
	v_mul_f32_e32 v247, 0x3e3c28d5, v14
	v_add_f32_e32 v136, v73, v136
	v_sub_f32_e32 v138, v192, v138
	v_add_f32_e32 v19, v19, v24
	v_add_f32_e32 v1, v2, v1
	v_fma_f32 v2, v20, s17, -v229
	v_add_f32_e32 v0, v130, v0
	v_fmac_f32_e32 v179, 0x3f65296c, v93
	v_mul_f32_e32 v235, 0x3f763a35, v16
	v_add_f32_e32 v136, v138, v136
	v_sub_f32_e32 v138, v197, v247
	v_add_f32_e32 v19, v27, v19
	v_add_f32_e32 v1, v2, v1
	v_fma_f32 v2, v22, s14, -v129
	v_add_f32_e32 v27, v179, v0
	v_fma_f32 v0, v8, s15, -v5
	v_mul_f32_e32 v242, 0x3f2c7751, v18
	v_add_f32_e32 v136, v138, v136
	v_sub_f32_e32 v138, v201, v235
	v_add_f32_e32 v24, v2, v1
	v_add_f32_e32 v0, v72, v0
	v_fma_f32 v1, v9, s17, -v181
	v_mul_f32_e32 v164, 0xbeb8f4ab, v21
	v_add_f32_e32 v136, v138, v136
	v_sub_f32_e32 v138, v205, v242
	v_add_f32_e32 v0, v1, v0
	v_fma_f32 v1, v11, s19, -v182
	v_mul_f32_e32 v245, 0xbf7ee86f, v23
	v_add_f32_e32 v136, v138, v136
	v_sub_f32_e32 v138, v209, v164
	;; [unrolled: 5-line block ×3, first 2 shown]
	v_add_f32_e32 v0, v1, v0
	v_fma_f32 v1, v15, s14, -v184
	v_add_f32_e32 v136, v138, v136
	v_sub_f32_e32 v138, v212, v249
	v_add_f32_e32 v0, v1, v0
	v_fma_f32 v1, v17, s6, -v131
	v_add_f32_e32 v209, v138, v136
	v_mul_f32_e32 v136, 0x3ee437d1, v8
	v_add_f32_e32 v0, v1, v0
	v_fma_f32 v1, v20, s16, -v180
	v_add_f32_e32 v136, v136, v168
	v_mul_f32_e32 v138, 0xbf1a4643, v9
	v_add_f32_e32 v0, v1, v0
	v_fma_f32 v1, v22, s7, -v133
	v_fmac_f32_e32 v132, 0xbf7ee86f, v10
	v_add_f32_e32 v136, v72, v136
	v_add_f32_e32 v138, v138, v244
	;; [unrolled: 1-line block ×4, first 2 shown]
	v_fmac_f32_e32 v173, 0xbe3c28d5, v12
	v_add_f32_e32 v136, v138, v136
	v_mul_f32_e32 v138, 0xbf7ba420, v11
	v_add_f32_e32 v0, v173, v0
	v_fmac_f32_e32 v174, 0x3f763a35, v14
	v_add_f32_e32 v138, v138, v193
	v_add_f32_e32 v0, v174, v0
	v_fmac_f32_e32 v175, 0x3eb8f4ab, v16
	v_add_f32_e32 v136, v138, v136
	v_mul_f32_e32 v138, 0xbe8c1d8e, v13
	v_add_f32_e32 v0, v175, v0
	v_fmac_f32_e32 v176, 0xbf65296c, v18
	v_add_f32_e32 v138, v138, v198
	v_add_f32_e32 v0, v176, v0
	v_fmac_f32_e32 v177, 0xbf06c442, v21
	v_add_f32_e32 v136, v138, v136
	v_mul_f32_e32 v138, 0x3f3d2fb0, v15
	v_add_f32_e32 v0, v177, v0
	v_fmac_f32_e32 v178, 0x3f4c4adb, v23
	v_add_f32_e32 v138, v138, v202
	buffer_load_dword v179, off, s[28:31], 0 offset:48 ; 4-byte Folded Reload
	buffer_load_dword v180, off, s[28:31], 0 offset:52 ; 4-byte Folded Reload
	;; [unrolled: 1-line block ×10, first 2 shown]
	v_add_f32_e32 v0, v178, v0
	buffer_load_dword v178, off, s[28:31], 0 offset:44 ; 4-byte Folded Reload
	v_add_f32_e32 v136, v138, v136
	v_mul_f32_e32 v138, 0x3f6eb680, v17
	v_add_f32_e32 v138, v138, v206
	v_add_f32_e32 v136, v138, v136
	v_mul_f32_e32 v138, 0x3dbcf732, v20
	v_add_f32_e32 v138, v138, v208
	;; [unrolled: 3-line block ×3, first 2 shown]
	v_add_f32_e32 v208, v138, v136
	v_mul_f32_e32 v136, 0xbf2c7751, v10
	v_sub_f32_e32 v136, v158, v136
	v_mul_f32_e32 v138, 0xbf7ee86f, v12
	v_add_f32_e32 v136, v73, v136
	v_sub_f32_e32 v138, v166, v138
	v_add_f32_e32 v136, v138, v136
	v_mul_f32_e32 v138, 0xbf4c4adb, v14
	v_sub_f32_e32 v138, v246, v138
	v_add_f32_e32 v136, v138, v136
	v_mul_f32_e32 v138, 0xbe3c28d5, v16
	;; [unrolled: 3-line block ×7, first 2 shown]
	v_add_f32_e32 v136, v136, v155
	v_mul_f32_e32 v138, 0x3dbcf732, v9
	v_add_f32_e32 v136, v72, v136
	v_add_f32_e32 v138, v138, v159
	;; [unrolled: 1-line block ×3, first 2 shown]
	v_mul_f32_e32 v138, 0xbf1a4643, v11
	v_add_f32_e32 v138, v138, v167
	v_add_f32_e32 v136, v138, v136
	v_mul_f32_e32 v138, 0xbf7ba420, v13
	v_add_f32_e32 v138, v138, v243
	v_add_f32_e32 v136, v138, v136
	;; [unrolled: 3-line block ×6, first 2 shown]
	v_mul_f32_e32 v136, 0x3f6eb680, v103
	v_mov_b32_e32 v103, v136
	v_mul_f32_e32 v106, 0x3f3d2fb0, v106
	v_fmac_f32_e32 v103, 0x3eb8f4ab, v10
	v_mov_b32_e32 v138, v106
	v_add_f32_e32 v103, v73, v103
	v_fmac_f32_e32 v138, 0x3f2c7751, v12
	v_add_f32_e32 v103, v138, v103
	v_mul_f32_e32 v138, 0x3ee437d1, v156
	v_mov_b32_e32 v155, v138
	v_fmac_f32_e32 v155, 0x3f65296c, v14
	v_add_f32_e32 v103, v155, v103
	v_mul_f32_e32 v155, 0x3dbcf732, v160
	v_mov_b32_e32 v156, v155
	;; [unrolled: 4-line block ×4, first 2 shown]
	v_fmac_f32_e32 v159, 0x3f4c4adb, v21
	v_fmac_f32_e32 v250, 0x3f2c7751, v93
	v_add_f32_e32 v103, v159, v103
	v_mul_f32_e32 v159, 0xbf59a7d5, v191
	v_add_f32_e32 v77, v250, v0
	v_fma_f32 v0, v8, s14, -v134
	v_mov_b32_e32 v160, v159
	v_add_f32_e32 v0, v72, v0
	v_fma_f32 v1, v9, s16, -v251
	v_fmac_f32_e32 v160, 0x3f06c442, v23
	v_add_f32_e32 v0, v1, v0
	v_fma_f32 v1, v11, s17, -v252
	v_add_f32_e32 v103, v160, v103
	v_mul_f32_e32 v160, 0xbf7ba420, v195
	v_add_f32_e32 v0, v1, v0
	v_fma_f32 v1, v13, s19, -v253
	v_mov_b32_e32 v164, v160
	v_add_f32_e32 v0, v1, v0
	v_fma_f32 v1, v15, s7, -v254
	v_fmac_f32_e32 v164, 0x3e3c28d5, v93
	v_mul_f32_e32 v101, 0xbeb8f4ab, v101
	v_add_f32_e32 v0, v1, v0
	v_fma_f32 v1, v17, s18, -v135
	v_add_f32_e32 v103, v164, v103
	v_mov_b32_e32 v164, v101
	v_mul_f32_e32 v166, 0xbf2c7751, v102
	v_add_f32_e32 v0, v1, v0
	v_fma_f32 v1, v20, s15, -v255
	v_fmac_f32_e32 v164, 0x3f6eb680, v8
	v_mov_b32_e32 v102, v166
	v_add_f32_e32 v0, v1, v0
	v_fma_f32 v1, v22, s6, -v137
	v_fmac_f32_e32 v136, 0xbeb8f4ab, v10
	v_add_f32_e32 v164, v72, v164
	v_fmac_f32_e32 v102, 0x3f3d2fb0, v9
	v_mul_f32_e32 v105, 0xbf65296c, v105
	v_add_f32_e32 v19, v76, v19
	v_add_f32_e32 v76, v1, v0
	;; [unrolled: 1-line block ×3, first 2 shown]
	v_fmac_f32_e32 v106, 0xbf2c7751, v12
	v_add_f32_e32 v102, v102, v164
	v_mov_b32_e32 v164, v105
	v_add_f32_e32 v0, v106, v0
	v_fmac_f32_e32 v138, 0xbf65296c, v14
	v_fmac_f32_e32 v164, 0x3ee437d1, v11
	v_mul_f32_e32 v107, 0xbf7ee86f, v107
	v_add_f32_e32 v0, v138, v0
	v_fmac_f32_e32 v155, 0xbf7ee86f, v16
	v_add_f32_e32 v102, v164, v102
	v_mov_b32_e32 v164, v107
	v_add_f32_e32 v0, v155, v0
	v_fmac_f32_e32 v156, 0xbf763a35, v18
	v_fmac_f32_e32 v164, 0x3dbcf732, v13
	v_mul_f32_e32 v157, 0xbf763a35, v157
	v_add_f32_e32 v0, v156, v0
	v_fmac_f32_e32 v158, 0xbf4c4adb, v21
	v_add_f32_e32 v102, v164, v102
	v_mov_b32_e32 v164, v157
	v_add_f32_e32 v0, v158, v0
	v_fmac_f32_e32 v159, 0xbf06c442, v23
	v_fmac_f32_e32 v164, 0xbe8c1d8e, v15
	v_add_f32_e32 v0, v159, v0
	v_fmac_f32_e32 v160, 0xbe3c28d5, v93
	v_add_f32_e32 v102, v164, v102
	v_mul_f32_e32 v164, 0xbf4c4adb, v165
	v_add_f32_e32 v10, v160, v0
	v_fma_f32 v0, v8, s19, -v101
	v_mov_b32_e32 v165, v164
	v_add_f32_e32 v0, v72, v0
	v_fma_f32 v1, v9, s6, -v166
	v_fmac_f32_e32 v165, 0xbf1a4643, v17
	v_add_f32_e32 v0, v1, v0
	v_fma_f32 v1, v11, s7, -v105
	v_add_f32_e32 v102, v165, v102
	v_mul_f32_e32 v165, 0xbf06c442, v170
	v_add_f32_e32 v19, v78, v19
	v_add_f32_e32 v0, v1, v0
	v_fma_f32 v1, v13, s14, -v107
	v_mov_b32_e32 v169, v165
	v_add_f32_e32 v19, v80, v19
	v_add_f32_e32 v0, v1, v0
	v_fma_f32 v1, v15, s17, -v157
	v_fmac_f32_e32 v169, 0xbf59a7d5, v20
	v_add_f32_e32 v19, v82, v19
	v_add_f32_e32 v0, v1, v0
	v_fma_f32 v1, v17, s15, -v164
	v_add_f32_e32 v102, v169, v102
	v_mul_f32_e32 v169, 0xbe3c28d5, v185
	v_add_f32_e32 v19, v84, v19
	v_add_f32_e32 v0, v1, v0
	v_fma_f32 v1, v20, s18, -v165
	v_add_f32_e32 v19, v86, v19
	v_mov_b32_e32 v130, v123
	v_add_f32_e32 v0, v1, v0
	v_fma_f32 v1, v22, s16, -v169
	v_add_f32_e32 v19, v88, v19
	v_mov_b32_e32 v129, v122
	v_mov_b32_e32 v122, v124
	v_add_f32_e32 v9, v1, v0
	v_lshrrev_b32_e32 v0, 1, v162
	v_mov_b32_e32 v170, v169
	v_add_f32_e32 v19, v90, v19
	v_mov_b32_e32 v121, v109
	v_mov_b32_e32 v123, v125
	;; [unrolled: 1-line block ×3, first 2 shown]
	v_mul_u32_u24_e32 v0, 34, v0
	v_and_b32_e32 v1, 1, v162
	v_fmac_f32_e32 v170, 0xbf7ba420, v22
	v_add_f32_e32 v19, v92, v19
	v_mov_b32_e32 v116, v219
	v_mov_b32_e32 v118, v171
	;; [unrolled: 1-line block ×10, first 2 shown]
	v_or_b32_e32 v0, v0, v1
	v_add_f32_e32 v102, v170, v102
	v_add_f32_e32 v74, v95, v19
	v_mov_b32_e32 v117, v220
	v_mov_b32_e32 v119, v172
	;; [unrolled: 1-line block ×8, first 2 shown]
	v_lshl_add_u32 v164, v162, 3, v163
	v_lshl_add_u32 v0, v0, 3, v163
	ds_write2_b64 v0, v[74:75], v[102:103] offset1:2
	ds_write2_b64 v0, v[167:168], v[208:209] offset0:4 offset1:6
	ds_write2_b64 v0, v[217:218], v[215:216] offset0:8 offset1:10
	;; [unrolled: 1-line block ×7, first 2 shown]
	ds_write_b64 v0, v[9:10] offset:256
.LBB0_25:
	s_or_b64 exec, exec, s[4:5]
	v_add_u32_e32 v8, 0x800, v161
	v_add_u32_e32 v9, 0x1000, v161
	s_waitcnt vmcnt(0) lgkmcnt(0)
	s_barrier
	ds_read2_b64 v[4:7], v161 offset1:68
	ds_read2_b64 v[0:3], v8 offset0:152 offset1:254
	ds_read2_b64 v[24:27], v9 offset0:66 offset1:134
	;; [unrolled: 1-line block ×3, first 2 shown]
	v_add_u32_e32 v9, 0x1400, v161
	v_add_u32_e32 v16, 0x1800, v161
	ds_read2_b64 v[20:23], v9 offset0:74 offset1:142
	ds_read2_b64 v[8:11], v8 offset0:16 offset1:84
	ds_read2_b64 v[16:19], v16 offset0:82 offset1:150
	s_and_saveexec_b64 s[2:3], s[0:1]
	s_cbranch_execz .LBB0_27
; %bb.26:
	ds_read_b64 v[30:31], v161 offset:3808
	ds_read_b64 v[28:29], v161 offset:7888
.LBB0_27:
	s_or_b64 exec, exec, s[2:3]
	s_waitcnt lgkmcnt(5)
	v_mul_f32_e32 v74, v148, v3
	v_fmac_f32_e32 v74, v147, v2
	v_mul_f32_e32 v2, v148, v2
	v_fma_f32 v3, v147, v3, -v2
	s_waitcnt lgkmcnt(4)
	v_mul_f32_e32 v75, v146, v25
	v_mul_f32_e32 v2, v146, v24
	v_fmac_f32_e32 v75, v145, v24
	v_fma_f32 v24, v145, v25, -v2
	v_mul_f32_e32 v25, v144, v27
	v_mul_f32_e32 v2, v144, v26
	v_fmac_f32_e32 v25, v143, v26
	v_fma_f32 v26, v143, v27, -v2
	s_waitcnt lgkmcnt(2)
	v_mul_f32_e32 v2, v142, v20
	v_mul_f32_e32 v27, v142, v21
	v_fma_f32 v21, v141, v21, -v2
	v_mul_f32_e32 v2, v154, v22
	v_mul_f32_e32 v76, v154, v23
	v_fma_f32 v23, v153, v23, -v2
	s_waitcnt lgkmcnt(0)
	v_mul_f32_e32 v2, v152, v16
	v_mul_f32_e32 v77, v152, v17
	v_fma_f32 v78, v151, v17, -v2
	v_mul_f32_e32 v79, v150, v19
	v_mul_f32_e32 v2, v150, v18
	v_fmac_f32_e32 v27, v141, v20
	v_fmac_f32_e32 v76, v153, v22
	;; [unrolled: 1-line block ×4, first 2 shown]
	v_fma_f32 v80, v149, v19, -v2
	v_sub_f32_e32 v2, v4, v74
	v_sub_f32_e32 v3, v5, v3
	v_add_u32_e32 v73, 0x220, v161
	v_add_u32_e32 v72, 0x440, v161
	v_fma_f32 v4, v4, 2.0, -v2
	v_fma_f32 v5, v5, 2.0, -v3
	v_sub_f32_e32 v16, v6, v75
	v_sub_f32_e32 v17, v7, v24
	;; [unrolled: 1-line block ×12, first 2 shown]
	v_fma_f32 v6, v6, 2.0, -v16
	v_fma_f32 v7, v7, 2.0, -v17
	;; [unrolled: 1-line block ×12, first 2 shown]
	s_barrier
	ds_write2_b64 v173, v[4:5], v[2:3] offset1:34
	ds_write2_b64 v175, v[6:7], v[16:17] offset1:34
	;; [unrolled: 1-line block ×7, first 2 shown]
	s_and_saveexec_b64 s[2:3], s[0:1]
	s_cbranch_execz .LBB0_29
; %bb.28:
	v_mul_f32_e32 v0, v140, v28
	v_fma_f32 v0, v139, v29, -v0
	v_sub_f32_e32 v1, v31, v0
	v_mul_f32_e32 v0, v140, v29
	v_fmac_f32_e32 v0, v139, v28
	v_sub_f32_e32 v0, v30, v0
	v_fma_f32 v3, v31, 2.0, -v1
	v_fma_f32 v2, v30, 2.0, -v0
	v_add_u32_e32 v4, 0x1800, v174
	ds_write2_b64 v4, v[2:3], v[0:1] offset0:184 offset1:218
.LBB0_29:
	s_or_b64 exec, exec, s[2:3]
	v_add_u32_e32 v3, 0x800, v161
	s_waitcnt lgkmcnt(0)
	s_barrier
	ds_read2_b64 v[9:12], v3 offset0:16 offset1:84
	v_add_u32_e32 v4, 0x1000, v161
	ds_read2_b64 v[5:8], v161 offset1:68
	ds_read2_b64 v[13:16], v4 offset0:168 offset1:236
	ds_read2_b64 v[17:20], v3 offset0:152 offset1:220
	;; [unrolled: 1-line block ×3, first 2 shown]
	v_add_u32_e32 v2, 0x1800, v161
	s_waitcnt lgkmcnt(4)
	v_mul_f32_e32 v31, v33, v12
	v_fmac_f32_e32 v31, v32, v11
	v_mul_f32_e32 v11, v33, v11
	v_fma_f32 v78, v32, v12, -v11
	s_waitcnt lgkmcnt(2)
	v_mul_f32_e32 v11, v35, v13
	ds_read2_b64 v[25:28], v2 offset0:48 offset1:116
	ds_read2_b64 v[74:77], v4 offset0:32 offset1:100
	ds_read_b64 v[29:30], v161 offset:7616
	v_mul_f32_e32 v79, v35, v14
	v_fma_f32 v14, v34, v14, -v11
	s_waitcnt lgkmcnt(4)
	v_mul_f32_e32 v11, v33, v17
	v_mul_f32_e32 v80, v33, v18
	v_fma_f32 v18, v32, v18, -v11
	v_mul_f32_e32 v11, v35, v15
	v_fmac_f32_e32 v80, v32, v17
	v_mul_f32_e32 v32, v35, v16
	v_fma_f32 v33, v34, v16, -v11
	v_mul_f32_e32 v11, v45, v19
	v_fmac_f32_e32 v79, v34, v13
	v_fmac_f32_e32 v32, v34, v15
	v_mul_f32_e32 v34, v45, v20
	v_fma_f32 v35, v44, v20, -v11
	s_waitcnt lgkmcnt(2)
	v_mul_f32_e32 v11, v47, v25
	v_fmac_f32_e32 v34, v44, v19
	v_mul_f32_e32 v44, v47, v26
	v_fma_f32 v26, v46, v26, -v11
	s_waitcnt lgkmcnt(1)
	v_mul_f32_e32 v45, v41, v75
	v_mul_f32_e32 v11, v41, v74
	v_fmac_f32_e32 v45, v40, v74
	v_fma_f32 v40, v40, v75, -v11
	v_mul_f32_e32 v41, v43, v28
	v_mul_f32_e32 v11, v43, v27
	v_fmac_f32_e32 v41, v42, v27
	v_fma_f32 v42, v42, v28, -v11
	;; [unrolled: 4-line block ×3, first 2 shown]
	s_waitcnt lgkmcnt(0)
	v_mul_f32_e32 v37, v39, v30
	v_mul_f32_e32 v11, v39, v29
	v_add_f32_e32 v12, v31, v79
	v_fmac_f32_e32 v37, v38, v29
	v_fma_f32 v38, v38, v30, -v11
	v_add_f32_e32 v11, v5, v31
	v_fma_f32 v5, -0.5, v12, v5
	v_sub_f32_e32 v12, v78, v14
	v_mov_b32_e32 v13, v5
	v_fmac_f32_e32 v13, 0xbf5db3d7, v12
	v_fmac_f32_e32 v5, 0x3f5db3d7, v12
	v_add_f32_e32 v12, v6, v78
	v_add_f32_e32 v12, v12, v14
	v_add_f32_e32 v14, v78, v14
	v_fma_f32 v6, -0.5, v14, v6
	v_sub_f32_e32 v15, v31, v79
	v_mov_b32_e32 v14, v6
	v_add_f32_e32 v16, v80, v32
	v_fmac_f32_e32 v14, 0x3f5db3d7, v15
	v_fmac_f32_e32 v6, 0xbf5db3d7, v15
	v_add_f32_e32 v15, v7, v80
	v_fma_f32 v7, -0.5, v16, v7
	v_sub_f32_e32 v16, v18, v33
	v_mov_b32_e32 v17, v7
	v_fmac_f32_e32 v17, 0xbf5db3d7, v16
	v_fmac_f32_e32 v7, 0x3f5db3d7, v16
	v_add_f32_e32 v16, v8, v18
	v_add_f32_e32 v18, v18, v33
	v_fmac_f32_e32 v44, v46, v25
	v_fmac_f32_e32 v8, -0.5, v18
	v_sub_f32_e32 v19, v80, v32
	v_mov_b32_e32 v18, v8
	v_add_f32_e32 v20, v34, v44
	v_fmac_f32_e32 v18, 0x3f5db3d7, v19
	v_fmac_f32_e32 v8, 0xbf5db3d7, v19
	v_add_f32_e32 v19, v21, v34
	v_fma_f32 v21, -0.5, v20, v21
	v_sub_f32_e32 v20, v35, v26
	v_mov_b32_e32 v25, v21
	v_fmac_f32_e32 v25, 0xbf5db3d7, v20
	v_fmac_f32_e32 v21, 0x3f5db3d7, v20
	v_add_f32_e32 v20, v22, v35
	v_add_f32_e32 v20, v20, v26
	;; [unrolled: 1-line block ×3, first 2 shown]
	v_fma_f32 v22, -0.5, v26, v22
	v_sub_f32_e32 v27, v34, v44
	v_mov_b32_e32 v26, v22
	v_add_f32_e32 v28, v45, v41
	v_fmac_f32_e32 v26, 0x3f5db3d7, v27
	v_fmac_f32_e32 v22, 0xbf5db3d7, v27
	v_add_f32_e32 v27, v23, v45
	v_fma_f32 v23, -0.5, v28, v23
	v_sub_f32_e32 v28, v40, v42
	v_mov_b32_e32 v29, v23
	v_add_f32_e32 v30, v40, v42
	v_fmac_f32_e32 v29, 0xbf5db3d7, v28
	v_fmac_f32_e32 v23, 0x3f5db3d7, v28
	v_add_f32_e32 v28, v24, v40
	v_fmac_f32_e32 v24, -0.5, v30
	v_add_f32_e32 v15, v15, v32
	v_sub_f32_e32 v31, v45, v41
	v_mov_b32_e32 v30, v24
	v_add_f32_e32 v32, v43, v37
	v_fmac_f32_e32 v30, 0x3f5db3d7, v31
	v_fmac_f32_e32 v24, 0xbf5db3d7, v31
	v_add_f32_e32 v31, v9, v43
	v_fma_f32 v9, -0.5, v32, v9
	v_add_f32_e32 v11, v11, v79
	v_add_f32_e32 v16, v16, v33
	v_sub_f32_e32 v32, v36, v38
	v_mov_b32_e32 v33, v9
	v_add_f32_e32 v34, v36, v38
	v_add_f32_e32 v19, v19, v44
	v_fmac_f32_e32 v33, 0xbf5db3d7, v32
	v_fmac_f32_e32 v9, 0x3f5db3d7, v32
	v_add_f32_e32 v32, v10, v36
	v_fmac_f32_e32 v10, -0.5, v34
	s_barrier
	ds_write2_b64 v161, v[11:12], v[13:14] offset1:68
	ds_write2_b64 v161, v[5:6], v[15:16] offset0:136 offset1:204
	ds_write2_b64 v3, v[17:18], v[7:8] offset0:16 offset1:84
	v_add_u32_e32 v5, 0x800, v181
	v_add_f32_e32 v27, v27, v41
	v_add_f32_e32 v28, v28, v42
	v_sub_f32_e32 v35, v43, v37
	v_mov_b32_e32 v34, v10
	ds_write2_b64 v5, v[19:20], v[25:26] offset0:152 offset1:220
	ds_write_b64 v181, v[21:22] offset:4352
	v_add_u32_e32 v5, 0x1000, v182
	v_add_f32_e32 v31, v31, v37
	v_add_f32_e32 v32, v32, v38
	v_fmac_f32_e32 v34, 0x3f5db3d7, v35
	v_fmac_f32_e32 v10, 0xbf5db3d7, v35
	ds_write2_b64 v5, v[27:28], v[29:30] offset0:100 offset1:168
	ds_write_b64 v182, v[23:24] offset:5984
	v_add_u32_e32 v5, 0x1800, v183
	ds_write2_b64 v5, v[31:32], v[33:34] offset0:48 offset1:116
	ds_write_b64 v183, v[9:10] offset:7616
	s_waitcnt lgkmcnt(0)
	s_barrier
	ds_read2_b64 v[5:8], v161 offset1:68
	ds_read2_b64 v[9:12], v161 offset0:136 offset1:204
	ds_read2_b64 v[13:16], v3 offset0:152 offset1:220
	ds_read2_b64 v[17:20], v4 offset0:32 offset1:100
	ds_read2_b64 v[21:24], v2 offset0:48 offset1:116
	ds_read2_b64 v[25:28], v3 offset0:16 offset1:84
	ds_read2_b64 v[29:32], v4 offset0:168 offset1:236
	ds_read_b64 v[33:34], v161 offset:7616
	s_waitcnt lgkmcnt(6)
	v_mul_f32_e32 v35, v61, v12
	v_fmac_f32_e32 v35, v60, v11
	v_mul_f32_e32 v11, v61, v11
	v_fma_f32 v36, v60, v12, -v11
	s_waitcnt lgkmcnt(5)
	v_mul_f32_e32 v11, v63, v13
	v_fma_f32 v38, v62, v14, -v11
	s_waitcnt lgkmcnt(4)
	v_mul_f32_e32 v39, v49, v20
	v_mul_f32_e32 v11, v49, v19
	v_fmac_f32_e32 v39, v48, v19
	v_fma_f32 v19, v48, v20, -v11
	s_waitcnt lgkmcnt(3)
	v_mul_f32_e32 v20, v51, v22
	v_mul_f32_e32 v11, v51, v21
	;; [unrolled: 1-line block ×3, first 2 shown]
	v_fmac_f32_e32 v20, v50, v21
	v_fma_f32 v21, v50, v22, -v11
	s_waitcnt lgkmcnt(2)
	v_mul_f32_e32 v11, v65, v25
	v_fmac_f32_e32 v37, v62, v13
	v_fma_f32 v41, v64, v26, -v11
	v_mul_f32_e32 v11, v67, v15
	v_fma_f32 v42, v66, v16, -v11
	s_waitcnt lgkmcnt(1)
	v_mul_f32_e32 v43, v53, v30
	v_mul_f32_e32 v11, v53, v29
	v_add_f32_e32 v12, v37, v39
	v_mul_f32_e32 v40, v65, v26
	v_mul_f32_e32 v26, v67, v16
	v_fmac_f32_e32 v43, v52, v29
	v_fma_f32 v29, v52, v30, -v11
	v_mul_f32_e32 v11, v55, v23
	v_fma_f32 v13, -0.5, v12, v5
	v_fmac_f32_e32 v26, v66, v15
	v_fma_f32 v44, v54, v24, -v11
	v_mul_f32_e32 v11, v69, v27
	v_mul_f32_e32 v47, v71, v18
	v_sub_f32_e32 v12, v36, v21
	v_mov_b32_e32 v15, v13
	v_fma_f32 v46, v68, v28, -v11
	v_fmac_f32_e32 v47, v70, v17
	v_mul_f32_e32 v11, v71, v17
	v_fmac_f32_e32 v15, 0xbf737871, v12
	v_sub_f32_e32 v14, v38, v19
	v_sub_f32_e32 v16, v35, v37
	v_sub_f32_e32 v17, v20, v39
	v_fmac_f32_e32 v13, 0x3f737871, v12
	v_fma_f32 v48, v70, v18, -v11
	v_mul_f32_e32 v11, v57, v31
	v_fmac_f32_e32 v15, 0xbf167918, v14
	v_add_f32_e32 v16, v16, v17
	v_fmac_f32_e32 v13, 0x3f167918, v14
	v_fma_f32 v50, v56, v32, -v11
	s_waitcnt lgkmcnt(0)
	v_mul_f32_e32 v11, v59, v33
	v_fmac_f32_e32 v15, 0x3e9e377a, v16
	v_fmac_f32_e32 v13, 0x3e9e377a, v16
	v_add_f32_e32 v16, v35, v20
	v_fma_f32 v51, v58, v34, -v11
	v_add_f32_e32 v11, v5, v35
	v_fma_f32 v5, -0.5, v16, v5
	v_mov_b32_e32 v17, v5
	v_add_f32_e32 v11, v11, v37
	v_fmac_f32_e32 v17, 0x3f737871, v14
	v_sub_f32_e32 v16, v37, v35
	v_sub_f32_e32 v18, v39, v20
	v_fmac_f32_e32 v5, 0xbf737871, v14
	v_add_f32_e32 v14, v38, v19
	v_add_f32_e32 v11, v11, v39
	v_fmac_f32_e32 v17, 0xbf167918, v12
	v_add_f32_e32 v16, v16, v18
	v_fmac_f32_e32 v5, 0x3f167918, v12
	v_fma_f32 v14, -0.5, v14, v6
	v_mul_f32_e32 v30, v55, v24
	v_add_f32_e32 v11, v11, v20
	v_fmac_f32_e32 v17, 0x3e9e377a, v16
	v_fmac_f32_e32 v5, 0x3e9e377a, v16
	v_sub_f32_e32 v20, v35, v20
	v_mov_b32_e32 v16, v14
	v_fmac_f32_e32 v30, v54, v23
	v_fmac_f32_e32 v16, 0x3f737871, v20
	v_sub_f32_e32 v22, v37, v39
	v_sub_f32_e32 v18, v36, v38
	;; [unrolled: 1-line block ×3, first 2 shown]
	v_fmac_f32_e32 v14, 0xbf737871, v20
	v_fmac_f32_e32 v16, 0x3f167918, v22
	v_add_f32_e32 v18, v18, v23
	v_fmac_f32_e32 v14, 0xbf167918, v22
	v_fmac_f32_e32 v16, 0x3e9e377a, v18
	;; [unrolled: 1-line block ×3, first 2 shown]
	v_add_f32_e32 v18, v36, v21
	v_add_f32_e32 v12, v6, v36
	v_fma_f32 v6, -0.5, v18, v6
	v_mov_b32_e32 v18, v6
	v_add_f32_e32 v12, v12, v38
	v_fmac_f32_e32 v18, 0xbf737871, v22
	v_fmac_f32_e32 v6, 0x3f737871, v22
	v_add_f32_e32 v12, v12, v19
	v_fmac_f32_e32 v18, 0x3f167918, v20
	v_fmac_f32_e32 v6, 0xbf167918, v20
	v_add_f32_e32 v20, v26, v43
	v_add_f32_e32 v12, v12, v21
	v_sub_f32_e32 v23, v38, v36
	v_sub_f32_e32 v19, v19, v21
	v_fma_f32 v21, -0.5, v20, v7
	v_fmac_f32_e32 v40, v64, v25
	v_add_f32_e32 v19, v23, v19
	v_sub_f32_e32 v20, v41, v44
	v_mov_b32_e32 v23, v21
	v_fmac_f32_e32 v23, 0xbf737871, v20
	v_sub_f32_e32 v22, v42, v29
	v_sub_f32_e32 v24, v40, v26
	;; [unrolled: 1-line block ×3, first 2 shown]
	v_fmac_f32_e32 v21, 0x3f737871, v20
	v_fmac_f32_e32 v23, 0xbf167918, v22
	v_add_f32_e32 v24, v24, v25
	v_fmac_f32_e32 v21, 0x3f167918, v22
	v_fmac_f32_e32 v23, 0x3e9e377a, v24
	;; [unrolled: 1-line block ×3, first 2 shown]
	v_add_f32_e32 v24, v40, v30
	v_fmac_f32_e32 v18, 0x3e9e377a, v19
	v_fmac_f32_e32 v6, 0x3e9e377a, v19
	v_add_f32_e32 v19, v7, v40
	v_fma_f32 v7, -0.5, v24, v7
	v_mul_f32_e32 v45, v69, v28
	v_mov_b32_e32 v25, v7
	v_fmac_f32_e32 v45, v68, v27
	v_fmac_f32_e32 v25, 0x3f737871, v22
	v_sub_f32_e32 v24, v26, v40
	v_sub_f32_e32 v27, v43, v30
	v_fmac_f32_e32 v7, 0xbf737871, v22
	v_add_f32_e32 v22, v42, v29
	v_add_f32_e32 v19, v19, v26
	v_fmac_f32_e32 v25, 0xbf167918, v20
	v_add_f32_e32 v24, v24, v27
	v_fmac_f32_e32 v7, 0x3f167918, v20
	v_fma_f32 v22, -0.5, v22, v8
	v_add_f32_e32 v19, v19, v43
	v_fmac_f32_e32 v25, 0x3e9e377a, v24
	v_fmac_f32_e32 v7, 0x3e9e377a, v24
	v_sub_f32_e32 v27, v40, v30
	v_mov_b32_e32 v24, v22
	v_add_f32_e32 v19, v19, v30
	v_fmac_f32_e32 v24, 0x3f737871, v27
	v_sub_f32_e32 v28, v26, v43
	v_sub_f32_e32 v26, v41, v42
	;; [unrolled: 1-line block ×3, first 2 shown]
	v_fmac_f32_e32 v22, 0xbf737871, v27
	v_fmac_f32_e32 v24, 0x3f167918, v28
	v_add_f32_e32 v26, v26, v30
	v_fmac_f32_e32 v22, 0xbf167918, v28
	v_fmac_f32_e32 v24, 0x3e9e377a, v26
	;; [unrolled: 1-line block ×3, first 2 shown]
	v_add_f32_e32 v26, v41, v44
	v_add_f32_e32 v20, v8, v41
	v_fmac_f32_e32 v8, -0.5, v26
	v_mul_f32_e32 v49, v57, v32
	v_add_f32_e32 v20, v20, v42
	v_mov_b32_e32 v26, v8
	v_fmac_f32_e32 v49, v56, v31
	v_add_f32_e32 v20, v20, v29
	v_fmac_f32_e32 v26, 0xbf737871, v28
	v_sub_f32_e32 v30, v42, v41
	v_sub_f32_e32 v29, v29, v44
	v_fmac_f32_e32 v8, 0x3f737871, v28
	v_fmac_f32_e32 v26, 0x3f167918, v27
	v_add_f32_e32 v29, v30, v29
	v_fmac_f32_e32 v8, 0xbf167918, v27
	v_add_f32_e32 v28, v47, v49
	v_mul_f32_e32 v32, v59, v34
	v_fmac_f32_e32 v26, 0x3e9e377a, v29
	v_fmac_f32_e32 v8, 0x3e9e377a, v29
	v_fma_f32 v29, -0.5, v28, v9
	v_fmac_f32_e32 v32, v58, v33
	v_sub_f32_e32 v28, v46, v51
	v_mov_b32_e32 v31, v29
	v_fmac_f32_e32 v31, 0xbf737871, v28
	v_sub_f32_e32 v30, v48, v50
	v_sub_f32_e32 v33, v45, v47
	;; [unrolled: 1-line block ×3, first 2 shown]
	v_fmac_f32_e32 v29, 0x3f737871, v28
	v_fmac_f32_e32 v31, 0xbf167918, v30
	v_add_f32_e32 v33, v33, v34
	v_fmac_f32_e32 v29, 0x3f167918, v30
	v_fmac_f32_e32 v31, 0x3e9e377a, v33
	;; [unrolled: 1-line block ×3, first 2 shown]
	v_add_f32_e32 v33, v45, v32
	v_add_f32_e32 v27, v9, v45
	v_fma_f32 v9, -0.5, v33, v9
	v_mov_b32_e32 v33, v9
	v_add_f32_e32 v27, v27, v47
	v_fmac_f32_e32 v33, 0x3f737871, v30
	v_fmac_f32_e32 v9, 0xbf737871, v30
	v_add_f32_e32 v30, v48, v50
	v_add_f32_e32 v27, v27, v49
	v_sub_f32_e32 v34, v47, v45
	v_sub_f32_e32 v35, v49, v32
	v_fma_f32 v30, -0.5, v30, v10
	v_add_f32_e32 v27, v27, v32
	v_fmac_f32_e32 v33, 0xbf167918, v28
	v_add_f32_e32 v34, v34, v35
	v_fmac_f32_e32 v9, 0x3f167918, v28
	v_sub_f32_e32 v35, v45, v32
	v_mov_b32_e32 v32, v30
	v_fmac_f32_e32 v33, 0x3e9e377a, v34
	v_fmac_f32_e32 v9, 0x3e9e377a, v34
	;; [unrolled: 1-line block ×3, first 2 shown]
	v_sub_f32_e32 v36, v47, v49
	v_sub_f32_e32 v34, v46, v48
	;; [unrolled: 1-line block ×3, first 2 shown]
	v_fmac_f32_e32 v30, 0xbf737871, v35
	v_fmac_f32_e32 v32, 0x3f167918, v36
	v_add_f32_e32 v34, v34, v37
	v_fmac_f32_e32 v30, 0xbf167918, v36
	v_fmac_f32_e32 v32, 0x3e9e377a, v34
	;; [unrolled: 1-line block ×3, first 2 shown]
	v_add_f32_e32 v34, v46, v51
	v_add_f32_e32 v28, v10, v46
	v_fmac_f32_e32 v10, -0.5, v34
	ds_write_b64 v161, v[11:12]
	v_add_u32_e32 v11, 0x600, v161
	v_mov_b32_e32 v34, v10
	ds_write2_b64 v11, v[15:16], v[17:18] offset0:12 offset1:216
	v_add_u32_e32 v11, 0x1200, v164
	v_add_f32_e32 v28, v28, v48
	v_fmac_f32_e32 v34, 0xbf737871, v36
	v_sub_f32_e32 v37, v48, v46
	v_sub_f32_e32 v38, v50, v51
	ds_write2_b64 v11, v[5:6], v[13:14] offset0:36 offset1:240
	v_add_u32_e32 v5, 0x600, v73
	v_add_f32_e32 v28, v28, v50
	v_fmac_f32_e32 v34, 0x3f167918, v35
	v_add_f32_e32 v37, v37, v38
	v_fmac_f32_e32 v10, 0x3f737871, v36
	ds_write2_b64 v5, v[23:24], v[25:26] offset0:12 offset1:216
	v_add_u32_e32 v5, 0x1200, v73
	v_add_f32_e32 v20, v20, v44
	v_add_f32_e32 v28, v28, v51
	v_fmac_f32_e32 v34, 0x3e9e377a, v37
	v_fmac_f32_e32 v10, 0xbf167918, v35
	ds_write2_b64 v5, v[7:8], v[21:22] offset0:36 offset1:240
	ds_write2_b64 v161, v[19:20], v[27:28] offset0:68 offset1:136
	v_add_u32_e32 v5, 0x600, v72
	v_fmac_f32_e32 v10, 0x3e9e377a, v37
	ds_write2_b64 v5, v[31:32], v[33:34] offset0:12 offset1:216
	v_add_u32_e32 v5, 0x1200, v72
	ds_write2_b64 v5, v[9:10], v[29:30] offset0:36 offset1:240
	s_waitcnt lgkmcnt(0)
	s_barrier
	ds_read2_b64 v[5:8], v161 offset1:68
	v_mad_u64_u32 v[0:1], s[2:3], s10, v128, 0
	v_mad_u64_u32 v[13:14], s[4:5], s8, v162, 0
	;; [unrolled: 1-line block ×3, first 2 shown]
	s_waitcnt lgkmcnt(0)
	v_mul_f32_e32 v1, v132, v6
	v_fmac_f32_e32 v1, v131, v5
	v_cvt_f64_f32_e32 v[10:11], v1
	s_mov_b32 s2, 0x10101010
	s_mov_b32 s3, 0x3f501010
	v_mul_f32_e32 v1, v132, v5
	v_mul_f64 v[10:11], v[10:11], s[2:3]
	v_fma_f32 v1, v131, v6, -v1
	v_cvt_f64_f32_e32 v[5:6], v1
	v_mov_b32_e32 v1, v9
	v_mov_b32_e32 v9, v14
	v_lshlrev_b64 v[0:1], 3, v[0:1]
	v_mul_f64 v[5:6], v[5:6], s[2:3]
	v_mov_b32_e32 v17, s13
	v_mad_u64_u32 v[14:15], s[4:5], s9, v162, v[9:10]
	v_cvt_f32_f64_e32 v15, v[10:11]
	ds_read2_b64 v[9:12], v3 offset0:152 offset1:254
	v_add_co_u32_e32 v18, vcc, s12, v0
	v_cvt_f32_f64_e32 v16, v[5:6]
	v_addc_co_u32_e32 v17, vcc, v17, v1, vcc
	s_waitcnt lgkmcnt(0)
	v_mul_f32_e32 v5, v125, v12
	v_fmac_f32_e32 v5, v124, v11
	v_mul_f32_e32 v11, v125, v11
	v_fma_f32 v11, v124, v12, -v11
	v_cvt_f64_f32_e32 v[5:6], v5
	v_cvt_f64_f32_e32 v[11:12], v11
	s_mul_i32 s4, s9, 0x1fe
	s_mul_hi_u32 s5, s8, 0x1fe
	v_mul_f64 v[0:1], v[5:6], s[2:3]
	v_mul_f64 v[5:6], v[11:12], s[2:3]
	v_lshlrev_b64 v[11:12], 3, v[13:14]
	s_add_i32 s5, s5, s4
	v_add_co_u32_e32 v11, vcc, v18, v11
	s_mul_i32 s4, s8, 0x1fe
	v_addc_co_u32_e32 v12, vcc, v17, v12, vcc
	v_cvt_f32_f64_e32 v0, v[0:1]
	v_cvt_f32_f64_e32 v1, v[5:6]
	v_mul_f32_e32 v5, v123, v8
	v_fmac_f32_e32 v5, v122, v7
	v_mul_f32_e32 v7, v123, v7
	v_fma_f32 v7, v122, v8, -v7
	v_cvt_f64_f32_e32 v[5:6], v5
	v_cvt_f64_f32_e32 v[7:8], v7
	s_lshl_b64 s[4:5], s[4:5], 3
	global_store_dwordx2 v[11:12], v[15:16], off
	v_mul_f64 v[5:6], v[5:6], s[2:3]
	v_mul_f64 v[7:8], v[7:8], s[2:3]
	v_mov_b32_e32 v19, s5
	v_add_co_u32_e32 v15, vcc, s4, v11
	v_addc_co_u32_e32 v16, vcc, v12, v19, vcc
	global_store_dwordx2 v[15:16], v[0:1], off
	v_cvt_f32_f64_e32 v0, v[5:6]
	v_cvt_f32_f64_e32 v1, v[7:8]
	ds_read2_b64 v[4:7], v4 offset0:66 offset1:134
	s_mul_hi_u32 s7, s8, 0xfffffe46
	s_mul_i32 s6, s9, 0xfffffe46
	s_sub_i32 s7, s7, s8
	s_add_i32 s7, s7, s6
	s_waitcnt lgkmcnt(0)
	v_mul_f32_e32 v8, v127, v5
	s_mul_i32 s6, s8, 0xfffffe46
	v_fmac_f32_e32 v8, v126, v4
	v_cvt_f64_f32_e32 v[11:12], v8
	s_lshl_b64 s[6:7], s[6:7], 3
	v_mov_b32_e32 v20, s7
	v_add_co_u32_e32 v15, vcc, s6, v15
	v_addc_co_u32_e32 v16, vcc, v16, v20, vcc
	global_store_dwordx2 v[15:16], v[0:1], off
	v_mul_f64 v[17:18], v[11:12], s[2:3]
	ds_read2_b64 v[11:14], v161 offset0:136 offset1:204
	buffer_load_dword v21, off, s[28:31], 0 offset:16 ; 4-byte Folded Reload
	buffer_load_dword v22, off, s[28:31], 0 offset:20 ; 4-byte Folded Reload
	v_mul_f32_e32 v4, v127, v4
	v_fma_f32 v4, v126, v5, -v4
	v_cvt_f64_f32_e32 v[4:5], v4
	s_waitcnt lgkmcnt(0)
	v_mul_f32_e32 v8, v130, v11
	v_fma_f32 v8, v129, v12, -v8
	v_cvt_f32_f64_e32 v0, v[17:18]
	v_mul_f64 v[4:5], v[4:5], s[2:3]
	v_add_co_u32_e32 v15, vcc, s4, v15
	v_addc_co_u32_e32 v16, vcc, v16, v19, vcc
	s_movk_i32 s10, 0x1000
	v_cvt_f32_f64_e32 v1, v[4:5]
	v_mul_f32_e32 v4, v130, v12
	v_fmac_f32_e32 v4, v129, v11
	v_cvt_f64_f32_e32 v[4:5], v4
	v_cvt_f64_f32_e32 v[11:12], v8
	global_store_dwordx2 v[15:16], v[0:1], off
	v_mul_f64 v[4:5], v[4:5], s[2:3]
	v_mul_f64 v[11:12], v[11:12], s[2:3]
	v_cvt_f32_f64_e32 v0, v[4:5]
	v_cvt_f32_f64_e32 v1, v[11:12]
	v_add_co_u32_e32 v11, vcc, s6, v15
	v_addc_co_u32_e32 v12, vcc, v16, v20, vcc
	global_store_dwordx2 v[11:12], v[0:1], off
	s_waitcnt vmcnt(2)
	v_mul_f32_e32 v8, v22, v7
	v_fmac_f32_e32 v8, v21, v6
	v_mul_f32_e32 v6, v22, v6
	v_fma_f32 v6, v21, v7, -v6
	v_cvt_f64_f32_e32 v[17:18], v8
	v_cvt_f64_f32_e32 v[6:7], v6
	v_mul_f64 v[4:5], v[17:18], s[2:3]
	v_mul_f64 v[6:7], v[6:7], s[2:3]
	v_add_co_u32_e32 v17, vcc, s4, v11
	v_addc_co_u32_e32 v18, vcc, v12, v19, vcc
	v_cvt_f32_f64_e32 v0, v[4:5]
	v_cvt_f32_f64_e32 v1, v[6:7]
	buffer_load_dword v5, off, s[28:31], 0 offset:8 ; 4-byte Folded Reload
	buffer_load_dword v6, off, s[28:31], 0 offset:12 ; 4-byte Folded Reload
	s_waitcnt vmcnt(0)
	v_mul_f32_e32 v4, v6, v14
	v_fmac_f32_e32 v4, v5, v13
	v_cvt_f64_f32_e32 v[15:16], v4
	v_mul_f32_e32 v4, v6, v13
	v_fma_f32 v4, v5, v14, -v4
	v_cvt_f64_f32_e32 v[13:14], v4
	v_add_u32_e32 v4, 0x1400, v161
	global_store_dwordx2 v[17:18], v[0:1], off
	ds_read2_b64 v[4:7], v4 offset0:74 offset1:142
	v_mul_f64 v[0:1], v[15:16], s[2:3]
	buffer_load_dword v15, off, s[28:31], 0 ; 4-byte Folded Reload
	buffer_load_dword v16, off, s[28:31], 0 offset:4 ; 4-byte Folded Reload
	v_mul_f64 v[11:12], v[13:14], s[2:3]
	v_add_co_u32_e32 v17, vcc, s6, v17
	v_addc_co_u32_e32 v18, vcc, v18, v20, vcc
	v_cvt_f32_f64_e32 v0, v[0:1]
	v_cvt_f32_f64_e32 v1, v[11:12]
	global_store_dwordx2 v[17:18], v[0:1], off
	s_waitcnt vmcnt(1) lgkmcnt(0)
	v_mul_f32_e32 v8, v16, v5
	v_fmac_f32_e32 v8, v15, v4
	v_mul_f32_e32 v4, v16, v4
	v_fma_f32 v4, v15, v5, -v4
	v_cvt_f64_f32_e32 v[4:5], v4
	v_cvt_f64_f32_e32 v[13:14], v8
	v_mul_f64 v[4:5], v[4:5], s[2:3]
	v_mul_f64 v[15:16], v[13:14], s[2:3]
	ds_read2_b64 v[11:14], v3 offset0:16 offset1:84
	s_waitcnt lgkmcnt(0)
	v_mul_f32_e32 v3, v121, v12
	v_cvt_f32_f64_e32 v1, v[4:5]
	v_mul_f32_e32 v5, v121, v11
	v_fmac_f32_e32 v3, v120, v11
	v_fma_f32 v5, v120, v12, -v5
	v_cvt_f64_f32_e32 v[3:4], v3
	v_cvt_f64_f32_e32 v[11:12], v5
	v_mul_f32_e32 v5, v119, v7
	v_cvt_f32_f64_e32 v0, v[15:16]
	v_mul_f64 v[3:4], v[3:4], s[2:3]
	v_mul_f64 v[11:12], v[11:12], s[2:3]
	v_add_co_u32_e32 v15, vcc, s4, v17
	v_fmac_f32_e32 v5, v118, v6
	v_addc_co_u32_e32 v16, vcc, v18, v19, vcc
	v_cvt_f64_f32_e32 v[17:18], v5
	v_mul_f32_e32 v5, v119, v6
	v_fma_f32 v5, v118, v7, -v5
	v_cvt_f64_f32_e32 v[5:6], v5
	global_store_dwordx2 v[15:16], v[0:1], off
	v_cvt_f32_f64_e32 v0, v[3:4]
	v_mul_f64 v[3:4], v[17:18], s[2:3]
	v_cvt_f32_f64_e32 v1, v[11:12]
	v_add_co_u32_e32 v7, vcc, s6, v15
	v_addc_co_u32_e32 v8, vcc, v16, v20, vcc
	v_mul_f64 v[5:6], v[5:6], s[2:3]
	global_store_dwordx2 v[7:8], v[0:1], off
	v_mul_f32_e32 v0, v115, v14
	v_fmac_f32_e32 v0, v114, v13
	v_cvt_f64_f32_e32 v[11:12], v0
	v_mul_f32_e32 v0, v115, v13
	v_fma_f32 v0, v114, v14, -v0
	v_cvt_f32_f64_e32 v4, v[3:4]
	v_cvt_f64_f32_e32 v[13:14], v0
	ds_read2_b64 v[0:3], v2 offset0:82 offset1:150
	v_cvt_f32_f64_e32 v5, v[5:6]
	v_add_co_u32_e32 v6, vcc, s4, v7
	v_addc_co_u32_e32 v7, vcc, v8, v19, vcc
	s_waitcnt lgkmcnt(0)
	v_mul_f32_e32 v8, v113, v1
	v_fmac_f32_e32 v8, v112, v0
	v_mul_f32_e32 v0, v113, v0
	v_fma_f32 v0, v112, v1, -v0
	v_mul_f64 v[11:12], v[11:12], s[2:3]
	v_mul_f64 v[13:14], v[13:14], s[2:3]
	v_cvt_f64_f32_e32 v[0:1], v0
	v_cvt_f64_f32_e32 v[15:16], v8
	global_store_dwordx2 v[6:7], v[4:5], off
	v_add_co_u32_e32 v6, vcc, s6, v6
	v_mul_f64 v[0:1], v[0:1], s[2:3]
	v_cvt_f32_f64_e32 v4, v[11:12]
	v_mul_f64 v[11:12], v[15:16], s[2:3]
	v_cvt_f32_f64_e32 v5, v[13:14]
	v_addc_co_u32_e32 v7, vcc, v7, v20, vcc
	v_mul_f32_e32 v8, v109, v9
	global_store_dwordx2 v[6:7], v[4:5], off
	v_cvt_f32_f64_e32 v5, v[0:1]
	v_mul_f32_e32 v0, v109, v10
	v_fmac_f32_e32 v0, v108, v9
	v_fma_f32 v8, v108, v10, -v8
	v_mul_f32_e32 v10, v111, v3
	v_cvt_f64_f32_e32 v[0:1], v0
	v_cvt_f64_f32_e32 v[8:9], v8
	v_fmac_f32_e32 v10, v110, v2
	v_mul_f32_e32 v2, v111, v2
	v_fma_f32 v2, v110, v3, -v2
	v_cvt_f32_f64_e32 v4, v[11:12]
	v_cvt_f64_f32_e32 v[10:11], v10
	v_cvt_f64_f32_e32 v[2:3], v2
	v_add_co_u32_e32 v6, vcc, s4, v6
	v_mul_f64 v[0:1], v[0:1], s[2:3]
	v_mul_f64 v[8:9], v[8:9], s[2:3]
	v_addc_co_u32_e32 v7, vcc, v7, v19, vcc
	global_store_dwordx2 v[6:7], v[4:5], off
	v_mul_f64 v[4:5], v[10:11], s[2:3]
	v_mul_f64 v[2:3], v[2:3], s[2:3]
	v_add_co_u32_e32 v6, vcc, s6, v6
	v_cvt_f32_f64_e32 v0, v[0:1]
	v_cvt_f32_f64_e32 v1, v[8:9]
	v_addc_co_u32_e32 v7, vcc, v7, v20, vcc
	v_cvt_f32_f64_e32 v4, v[4:5]
	v_cvt_f32_f64_e32 v5, v[2:3]
	global_store_dwordx2 v[6:7], v[0:1], off
	v_add_co_u32_e32 v0, vcc, s4, v6
	v_addc_co_u32_e32 v1, vcc, v7, v19, vcc
	global_store_dwordx2 v[0:1], v[4:5], off
	s_and_b64 exec, exec, s[0:1]
	s_cbranch_execz .LBB0_31
; %bb.30:
	global_load_dwordx2 v[2:3], v[116:117], off offset:3808
	ds_read_b64 v[4:5], v161 offset:3808
	ds_read_b64 v[6:7], v161 offset:7888
	v_mov_b32_e32 v10, s7
	s_waitcnt vmcnt(0) lgkmcnt(1)
	v_mul_f32_e32 v8, v5, v3
	v_mul_f32_e32 v3, v4, v3
	v_fmac_f32_e32 v8, v4, v2
	v_fma_f32 v4, v2, v5, -v3
	v_cvt_f64_f32_e32 v[2:3], v8
	v_cvt_f64_f32_e32 v[4:5], v4
	v_add_co_u32_e32 v8, vcc, s10, v116
	v_mul_f64 v[2:3], v[2:3], s[2:3]
	v_mul_f64 v[4:5], v[4:5], s[2:3]
	v_addc_co_u32_e32 v9, vcc, 0, v117, vcc
	v_add_co_u32_e32 v0, vcc, s6, v0
	v_addc_co_u32_e32 v1, vcc, v1, v10, vcc
	v_cvt_f32_f64_e32 v2, v[2:3]
	v_cvt_f32_f64_e32 v3, v[4:5]
	global_store_dwordx2 v[0:1], v[2:3], off
	global_load_dwordx2 v[2:3], v[8:9], off offset:3792
	v_add_co_u32_e32 v0, vcc, s4, v0
	s_waitcnt vmcnt(0) lgkmcnt(0)
	v_mul_f32_e32 v4, v7, v3
	v_mul_f32_e32 v3, v6, v3
	v_fmac_f32_e32 v4, v6, v2
	v_fma_f32 v5, v2, v7, -v3
	v_cvt_f64_f32_e32 v[2:3], v4
	v_cvt_f64_f32_e32 v[4:5], v5
	v_mov_b32_e32 v6, s5
	v_addc_co_u32_e32 v1, vcc, v1, v6, vcc
	v_mul_f64 v[2:3], v[2:3], s[2:3]
	v_mul_f64 v[4:5], v[4:5], s[2:3]
	v_cvt_f32_f64_e32 v2, v[2:3]
	v_cvt_f32_f64_e32 v3, v[4:5]
	global_store_dwordx2 v[0:1], v[2:3], off
.LBB0_31:
	s_endpgm
	.section	.rodata,"a",@progbits
	.p2align	6, 0x0
	.amdhsa_kernel bluestein_single_back_len1020_dim1_sp_op_CI_CI
		.amdhsa_group_segment_fixed_size 24480
		.amdhsa_private_segment_fixed_size 72
		.amdhsa_kernarg_size 104
		.amdhsa_user_sgpr_count 6
		.amdhsa_user_sgpr_private_segment_buffer 1
		.amdhsa_user_sgpr_dispatch_ptr 0
		.amdhsa_user_sgpr_queue_ptr 0
		.amdhsa_user_sgpr_kernarg_segment_ptr 1
		.amdhsa_user_sgpr_dispatch_id 0
		.amdhsa_user_sgpr_flat_scratch_init 0
		.amdhsa_user_sgpr_private_segment_size 0
		.amdhsa_uses_dynamic_stack 0
		.amdhsa_system_sgpr_private_segment_wavefront_offset 1
		.amdhsa_system_sgpr_workgroup_id_x 1
		.amdhsa_system_sgpr_workgroup_id_y 0
		.amdhsa_system_sgpr_workgroup_id_z 0
		.amdhsa_system_sgpr_workgroup_info 0
		.amdhsa_system_vgpr_workitem_id 0
		.amdhsa_next_free_vgpr 256
		.amdhsa_next_free_sgpr 32
		.amdhsa_reserve_vcc 1
		.amdhsa_reserve_flat_scratch 0
		.amdhsa_float_round_mode_32 0
		.amdhsa_float_round_mode_16_64 0
		.amdhsa_float_denorm_mode_32 3
		.amdhsa_float_denorm_mode_16_64 3
		.amdhsa_dx10_clamp 1
		.amdhsa_ieee_mode 1
		.amdhsa_fp16_overflow 0
		.amdhsa_exception_fp_ieee_invalid_op 0
		.amdhsa_exception_fp_denorm_src 0
		.amdhsa_exception_fp_ieee_div_zero 0
		.amdhsa_exception_fp_ieee_overflow 0
		.amdhsa_exception_fp_ieee_underflow 0
		.amdhsa_exception_fp_ieee_inexact 0
		.amdhsa_exception_int_div_zero 0
	.end_amdhsa_kernel
	.text
.Lfunc_end0:
	.size	bluestein_single_back_len1020_dim1_sp_op_CI_CI, .Lfunc_end0-bluestein_single_back_len1020_dim1_sp_op_CI_CI
                                        ; -- End function
	.section	.AMDGPU.csdata,"",@progbits
; Kernel info:
; codeLenInByte = 22504
; NumSgprs: 36
; NumVgprs: 256
; ScratchSize: 72
; MemoryBound: 0
; FloatMode: 240
; IeeeMode: 1
; LDSByteSize: 24480 bytes/workgroup (compile time only)
; SGPRBlocks: 4
; VGPRBlocks: 63
; NumSGPRsForWavesPerEU: 36
; NumVGPRsForWavesPerEU: 256
; Occupancy: 1
; WaveLimiterHint : 1
; COMPUTE_PGM_RSRC2:SCRATCH_EN: 1
; COMPUTE_PGM_RSRC2:USER_SGPR: 6
; COMPUTE_PGM_RSRC2:TRAP_HANDLER: 0
; COMPUTE_PGM_RSRC2:TGID_X_EN: 1
; COMPUTE_PGM_RSRC2:TGID_Y_EN: 0
; COMPUTE_PGM_RSRC2:TGID_Z_EN: 0
; COMPUTE_PGM_RSRC2:TIDIG_COMP_CNT: 0
	.type	__hip_cuid_49fba86fc4fa3d99,@object ; @__hip_cuid_49fba86fc4fa3d99
	.section	.bss,"aw",@nobits
	.globl	__hip_cuid_49fba86fc4fa3d99
__hip_cuid_49fba86fc4fa3d99:
	.byte	0                               ; 0x0
	.size	__hip_cuid_49fba86fc4fa3d99, 1

	.ident	"AMD clang version 19.0.0git (https://github.com/RadeonOpenCompute/llvm-project roc-6.4.0 25133 c7fe45cf4b819c5991fe208aaa96edf142730f1d)"
	.section	".note.GNU-stack","",@progbits
	.addrsig
	.addrsig_sym __hip_cuid_49fba86fc4fa3d99
	.amdgpu_metadata
---
amdhsa.kernels:
  - .args:
      - .actual_access:  read_only
        .address_space:  global
        .offset:         0
        .size:           8
        .value_kind:     global_buffer
      - .actual_access:  read_only
        .address_space:  global
        .offset:         8
        .size:           8
        .value_kind:     global_buffer
      - .actual_access:  read_only
        .address_space:  global
        .offset:         16
        .size:           8
        .value_kind:     global_buffer
      - .actual_access:  read_only
        .address_space:  global
        .offset:         24
        .size:           8
        .value_kind:     global_buffer
      - .actual_access:  read_only
        .address_space:  global
        .offset:         32
        .size:           8
        .value_kind:     global_buffer
      - .offset:         40
        .size:           8
        .value_kind:     by_value
      - .address_space:  global
        .offset:         48
        .size:           8
        .value_kind:     global_buffer
      - .address_space:  global
        .offset:         56
        .size:           8
        .value_kind:     global_buffer
      - .address_space:  global
        .offset:         64
        .size:           8
        .value_kind:     global_buffer
      - .address_space:  global
        .offset:         72
        .size:           8
        .value_kind:     global_buffer
      - .offset:         80
        .size:           4
        .value_kind:     by_value
      - .address_space:  global
        .offset:         88
        .size:           8
        .value_kind:     global_buffer
      - .address_space:  global
        .offset:         96
        .size:           8
        .value_kind:     global_buffer
    .group_segment_fixed_size: 24480
    .kernarg_segment_align: 8
    .kernarg_segment_size: 104
    .language:       OpenCL C
    .language_version:
      - 2
      - 0
    .max_flat_workgroup_size: 204
    .name:           bluestein_single_back_len1020_dim1_sp_op_CI_CI
    .private_segment_fixed_size: 72
    .sgpr_count:     36
    .sgpr_spill_count: 0
    .symbol:         bluestein_single_back_len1020_dim1_sp_op_CI_CI.kd
    .uniform_work_group_size: 1
    .uses_dynamic_stack: false
    .vgpr_count:     256
    .vgpr_spill_count: 17
    .wavefront_size: 64
amdhsa.target:   amdgcn-amd-amdhsa--gfx906
amdhsa.version:
  - 1
  - 2
...

	.end_amdgpu_metadata
